;; amdgpu-corpus repo=LLNL/RAJAPerf kind=compiled arch=gfx906 opt=O3
	.amdgcn_target "amdgcn-amd-amdhsa--gfx906"
	.amdhsa_code_object_version 6
	.section	.text._ZN7rocprim6detail19block_reduce_kernelILb0ELb1ELj1ENS0_21wrapped_reduce_configINS_14default_configEdEEdPdS5_dNS_4plusIdEEEEvT4_mT5_T6_T7_,"axG",@progbits,_ZN7rocprim6detail19block_reduce_kernelILb0ELb1ELj1ENS0_21wrapped_reduce_configINS_14default_configEdEEdPdS5_dNS_4plusIdEEEEvT4_mT5_T6_T7_,comdat
	.protected	_ZN7rocprim6detail19block_reduce_kernelILb0ELb1ELj1ENS0_21wrapped_reduce_configINS_14default_configEdEEdPdS5_dNS_4plusIdEEEEvT4_mT5_T6_T7_ ; -- Begin function _ZN7rocprim6detail19block_reduce_kernelILb0ELb1ELj1ENS0_21wrapped_reduce_configINS_14default_configEdEEdPdS5_dNS_4plusIdEEEEvT4_mT5_T6_T7_
	.globl	_ZN7rocprim6detail19block_reduce_kernelILb0ELb1ELj1ENS0_21wrapped_reduce_configINS_14default_configEdEEdPdS5_dNS_4plusIdEEEEvT4_mT5_T6_T7_
	.p2align	8
	.type	_ZN7rocprim6detail19block_reduce_kernelILb0ELb1ELj1ENS0_21wrapped_reduce_configINS_14default_configEdEEdPdS5_dNS_4plusIdEEEEvT4_mT5_T6_T7_,@function
_ZN7rocprim6detail19block_reduce_kernelILb0ELb1ELj1ENS0_21wrapped_reduce_configINS_14default_configEdEEdPdS5_dNS_4plusIdEEEEvT4_mT5_T6_T7_: ; @_ZN7rocprim6detail19block_reduce_kernelILb0ELb1ELj1ENS0_21wrapped_reduce_configINS_14default_configEdEEdPdS5_dNS_4plusIdEEEEvT4_mT5_T6_T7_
; %bb.0:
	s_load_dwordx8 s[8:15], s[4:5], 0x0
	s_lshl_b32 s0, s6, 9
	s_mov_b32 s1, 0
	s_lshl_b64 s[4:5], s[0:1], 3
	s_mov_b32 s7, s1
	s_waitcnt lgkmcnt(0)
	s_lshr_b64 s[2:3], s[10:11], 9
	s_add_u32 s1, s8, s4
	s_addc_u32 s4, s9, s5
	v_lshlrev_b32_e32 v1, 3, v0
	v_mov_b32_e32 v2, s4
	v_add_co_u32_e32 v9, vcc, s1, v1
	s_cmp_lg_u64 s[2:3], s[6:7]
	v_addc_co_u32_e32 v10, vcc, 0, v2, vcc
	v_mbcnt_lo_u32_b32 v11, -1, 0
	s_cbranch_scc0 .LBB0_6
; %bb.1:
	global_load_dwordx2 v[1:2], v[9:10], off
	global_load_dwordx2 v[3:4], v[9:10], off offset:1024
	global_load_dwordx2 v[5:6], v[9:10], off offset:2048
	;; [unrolled: 1-line block ×3, first 2 shown]
	s_waitcnt vmcnt(2)
	v_add_f64 v[1:2], v[1:2], v[3:4]
	s_waitcnt vmcnt(1)
	v_add_f64 v[1:2], v[1:2], v[5:6]
	;; [unrolled: 2-line block ×3, first 2 shown]
	s_nop 1
	v_mov_b32_dpp v3, v1 quad_perm:[1,0,3,2] row_mask:0xf bank_mask:0xf
	v_mov_b32_dpp v4, v2 quad_perm:[1,0,3,2] row_mask:0xf bank_mask:0xf
	v_add_f64 v[1:2], v[1:2], v[3:4]
	s_nop 1
	v_mov_b32_dpp v3, v1 quad_perm:[2,3,0,1] row_mask:0xf bank_mask:0xf
	v_mov_b32_dpp v4, v2 quad_perm:[2,3,0,1] row_mask:0xf bank_mask:0xf
	v_add_f64 v[1:2], v[1:2], v[3:4]
	s_nop 1
	v_mov_b32_dpp v3, v1 row_ror:4 row_mask:0xf bank_mask:0xf
	v_mov_b32_dpp v4, v2 row_ror:4 row_mask:0xf bank_mask:0xf
	v_add_f64 v[1:2], v[1:2], v[3:4]
	s_nop 1
	v_mov_b32_dpp v3, v1 row_ror:8 row_mask:0xf bank_mask:0xf
	v_mov_b32_dpp v4, v2 row_ror:8 row_mask:0xf bank_mask:0xf
	v_add_f64 v[1:2], v[1:2], v[3:4]
	s_nop 1
	v_mov_b32_dpp v3, v1 row_bcast:15 row_mask:0xf bank_mask:0xf
	v_mov_b32_dpp v4, v2 row_bcast:15 row_mask:0xf bank_mask:0xf
	v_add_f64 v[1:2], v[1:2], v[3:4]
	s_nop 1
	v_mov_b32_dpp v3, v1 row_bcast:31 row_mask:0xf bank_mask:0xf
	v_mov_b32_dpp v4, v2 row_bcast:31 row_mask:0xf bank_mask:0xf
	v_add_f64 v[1:2], v[1:2], v[3:4]
	v_mbcnt_hi_u32_b32 v4, -1, v11
	v_lshlrev_b32_e32 v3, 2, v4
	v_or_b32_e32 v5, 0xfc, v3
	v_cmp_eq_u32_e32 vcc, 0, v4
	ds_bpermute_b32 v1, v5, v1
	ds_bpermute_b32 v2, v5, v2
	s_and_saveexec_b64 s[2:3], vcc
	s_cbranch_execz .LBB0_3
; %bb.2:
	v_lshrrev_b32_e32 v5, 3, v0
	v_and_b32_e32 v5, 8, v5
	s_waitcnt lgkmcnt(0)
	ds_write_b64 v5, v[1:2]
.LBB0_3:
	s_or_b64 exec, exec, s[2:3]
	v_cmp_gt_u32_e32 vcc, 64, v0
	s_waitcnt lgkmcnt(0)
	s_barrier
	s_and_saveexec_b64 s[2:3], vcc
	s_cbranch_execz .LBB0_5
; %bb.4:
	v_and_b32_e32 v1, 1, v4
	v_lshlrev_b32_e32 v1, 3, v1
	ds_read_b64 v[1:2], v1
	v_or_b32_e32 v4, 4, v3
	s_waitcnt lgkmcnt(0)
	ds_bpermute_b32 v3, v4, v1
	ds_bpermute_b32 v4, v4, v2
	s_waitcnt lgkmcnt(0)
	v_add_f64 v[1:2], v[1:2], v[3:4]
.LBB0_5:
	s_or_b64 exec, exec, s[2:3]
	s_branch .LBB0_30
.LBB0_6:
                                        ; implicit-def: $vgpr1_vgpr2
	s_cbranch_execz .LBB0_30
; %bb.7:
	s_sub_i32 s8, s10, s0
	v_mov_b32_e32 v1, 0
	v_cmp_gt_u32_e32 vcc, s8, v0
	v_mov_b32_e32 v2, v1
	v_mov_b32_e32 v3, v1
	;; [unrolled: 1-line block ×7, first 2 shown]
	s_and_saveexec_b64 s[0:1], vcc
	s_cbranch_execz .LBB0_9
; %bb.8:
	global_load_dwordx2 v[12:13], v[9:10], off
	v_mov_b32_e32 v14, v1
	v_mov_b32_e32 v15, v1
	;; [unrolled: 1-line block ×6, first 2 shown]
	s_waitcnt vmcnt(0)
	v_mov_b32_e32 v1, v12
	v_mov_b32_e32 v2, v13
	;; [unrolled: 1-line block ×8, first 2 shown]
.LBB0_9:
	s_or_b64 exec, exec, s[0:1]
	v_or_b32_e32 v12, 0x80, v0
	v_cmp_gt_u32_e32 vcc, s8, v12
	s_and_saveexec_b64 s[0:1], vcc
	s_cbranch_execz .LBB0_11
; %bb.10:
	global_load_dwordx2 v[3:4], v[9:10], off offset:1024
.LBB0_11:
	s_or_b64 exec, exec, s[0:1]
	v_or_b32_e32 v12, 0x100, v0
	v_cmp_gt_u32_e64 s[2:3], s8, v12
	s_and_saveexec_b64 s[0:1], s[2:3]
	s_cbranch_execz .LBB0_13
; %bb.12:
	global_load_dwordx2 v[5:6], v[9:10], off offset:2048
.LBB0_13:
	s_or_b64 exec, exec, s[0:1]
	v_or_b32_e32 v12, 0x180, v0
	v_cmp_gt_u32_e64 s[0:1], s8, v12
	s_and_saveexec_b64 s[4:5], s[0:1]
	s_cbranch_execz .LBB0_15
; %bb.14:
	global_load_dwordx2 v[7:8], v[9:10], off offset:3072
.LBB0_15:
	s_or_b64 exec, exec, s[4:5]
	s_waitcnt vmcnt(0)
	v_add_f64 v[3:4], v[1:2], v[3:4]
	v_cndmask_b32_e32 v2, v2, v4, vcc
	v_cndmask_b32_e32 v1, v1, v3, vcc
	v_add_f64 v[3:4], v[5:6], v[1:2]
	v_mbcnt_hi_u32_b32 v5, -1, v11
	v_cndmask_b32_e64 v2, v2, v4, s[2:3]
	v_cndmask_b32_e64 v1, v1, v3, s[2:3]
	v_add_f64 v[3:4], v[7:8], v[1:2]
	v_and_b32_e32 v7, 63, v5
	v_cmp_ne_u32_e32 vcc, 63, v7
	v_addc_co_u32_e32 v6, vcc, 0, v5, vcc
	v_lshlrev_b32_e32 v6, 2, v6
	s_min_u32 s2, s8, 0x80
	v_add_u32_e32 v8, 1, v5
	v_cndmask_b32_e64 v2, v2, v4, s[0:1]
	v_cndmask_b32_e64 v1, v1, v3, s[0:1]
	ds_bpermute_b32 v3, v6, v1
	ds_bpermute_b32 v4, v6, v2
	v_and_b32_e32 v6, 64, v0
	v_sub_u32_e64 v6, s2, v6 clamp
	v_cmp_lt_u32_e32 vcc, v8, v6
	s_and_saveexec_b64 s[0:1], vcc
	s_cbranch_execz .LBB0_17
; %bb.16:
	s_waitcnt lgkmcnt(0)
	v_add_f64 v[1:2], v[1:2], v[3:4]
.LBB0_17:
	s_or_b64 exec, exec, s[0:1]
	v_cmp_gt_u32_e32 vcc, 62, v7
	s_waitcnt lgkmcnt(1)
	v_cndmask_b32_e64 v3, 0, 2, vcc
	s_waitcnt lgkmcnt(0)
	v_add_lshl_u32 v4, v3, v5, 2
	ds_bpermute_b32 v3, v4, v1
	ds_bpermute_b32 v4, v4, v2
	v_add_u32_e32 v8, 2, v5
	v_cmp_lt_u32_e32 vcc, v8, v6
	s_and_saveexec_b64 s[0:1], vcc
	s_cbranch_execz .LBB0_19
; %bb.18:
	s_waitcnt lgkmcnt(0)
	v_add_f64 v[1:2], v[1:2], v[3:4]
.LBB0_19:
	s_or_b64 exec, exec, s[0:1]
	v_cmp_gt_u32_e32 vcc, 60, v7
	s_waitcnt lgkmcnt(1)
	v_cndmask_b32_e64 v3, 0, 4, vcc
	s_waitcnt lgkmcnt(0)
	v_add_lshl_u32 v4, v3, v5, 2
	ds_bpermute_b32 v3, v4, v1
	ds_bpermute_b32 v4, v4, v2
	v_add_u32_e32 v8, 4, v5
	;; [unrolled: 16-line block ×4, first 2 shown]
	v_cmp_lt_u32_e32 vcc, v7, v6
	s_and_saveexec_b64 s[0:1], vcc
	s_cbranch_execz .LBB0_25
; %bb.24:
	s_waitcnt lgkmcnt(0)
	v_add_f64 v[1:2], v[1:2], v[3:4]
.LBB0_25:
	s_or_b64 exec, exec, s[0:1]
	s_waitcnt lgkmcnt(1)
	v_lshlrev_b32_e32 v3, 2, v5
	s_waitcnt lgkmcnt(0)
	v_or_b32_e32 v4, 0x80, v3
	ds_bpermute_b32 v7, v4, v1
	ds_bpermute_b32 v8, v4, v2
	v_add_u32_e32 v4, 32, v5
	v_cmp_lt_u32_e32 vcc, v4, v6
	s_waitcnt lgkmcnt(0)
	v_add_f64 v[7:8], v[1:2], v[7:8]
	v_cndmask_b32_e32 v2, v2, v8, vcc
	v_cndmask_b32_e32 v1, v1, v7, vcc
	v_cmp_eq_u32_e32 vcc, 0, v5
	s_and_saveexec_b64 s[0:1], vcc
; %bb.26:
	v_lshrrev_b32_e32 v4, 3, v0
	v_and_b32_e32 v4, 8, v4
	ds_write_b64 v4, v[1:2] offset:16
; %bb.27:
	s_or_b64 exec, exec, s[0:1]
	v_cmp_gt_u32_e32 vcc, 2, v0
	s_waitcnt lgkmcnt(0)
	s_barrier
	s_and_saveexec_b64 s[0:1], vcc
	s_cbranch_execz .LBB0_29
; %bb.28:
	v_lshlrev_b32_e32 v1, 3, v5
	ds_read_b64 v[1:2], v1 offset:16
	v_or_b32_e32 v4, 4, v3
	s_add_i32 s2, s2, 63
	v_and_b32_e32 v5, 1, v5
	s_lshr_b32 s2, s2, 6
	s_waitcnt lgkmcnt(0)
	ds_bpermute_b32 v3, v4, v1
	ds_bpermute_b32 v4, v4, v2
	v_add_u32_e32 v5, 1, v5
	v_cmp_gt_u32_e32 vcc, s2, v5
	s_waitcnt lgkmcnt(0)
	v_add_f64 v[3:4], v[1:2], v[3:4]
	v_cndmask_b32_e32 v2, v2, v4, vcc
	v_cndmask_b32_e32 v1, v1, v3, vcc
.LBB0_29:
	s_or_b64 exec, exec, s[0:1]
.LBB0_30:
	v_cmp_eq_u32_e32 vcc, 0, v0
	s_and_saveexec_b64 s[0:1], vcc
	s_cbranch_execnz .LBB0_32
; %bb.31:
	s_endpgm
.LBB0_32:
	s_lshl_b64 s[0:1], s[6:7], 3
	s_add_u32 s0, s12, s0
	s_addc_u32 s1, s13, s1
	s_cmp_eq_u64 s[10:11], 0
	v_mov_b32_e32 v3, s15
	s_cselect_b64 vcc, -1, 0
	v_cndmask_b32_e32 v2, v2, v3, vcc
	v_mov_b32_e32 v3, s14
	v_mov_b32_e32 v0, 0
	v_cndmask_b32_e32 v1, v1, v3, vcc
	global_store_dwordx2 v0, v[1:2], s[0:1]
	s_endpgm
	.section	.rodata,"a",@progbits
	.p2align	6, 0x0
	.amdhsa_kernel _ZN7rocprim6detail19block_reduce_kernelILb0ELb1ELj1ENS0_21wrapped_reduce_configINS_14default_configEdEEdPdS5_dNS_4plusIdEEEEvT4_mT5_T6_T7_
		.amdhsa_group_segment_fixed_size 32
		.amdhsa_private_segment_fixed_size 0
		.amdhsa_kernarg_size 36
		.amdhsa_user_sgpr_count 6
		.amdhsa_user_sgpr_private_segment_buffer 1
		.amdhsa_user_sgpr_dispatch_ptr 0
		.amdhsa_user_sgpr_queue_ptr 0
		.amdhsa_user_sgpr_kernarg_segment_ptr 1
		.amdhsa_user_sgpr_dispatch_id 0
		.amdhsa_user_sgpr_flat_scratch_init 0
		.amdhsa_user_sgpr_private_segment_size 0
		.amdhsa_uses_dynamic_stack 0
		.amdhsa_system_sgpr_private_segment_wavefront_offset 0
		.amdhsa_system_sgpr_workgroup_id_x 1
		.amdhsa_system_sgpr_workgroup_id_y 0
		.amdhsa_system_sgpr_workgroup_id_z 0
		.amdhsa_system_sgpr_workgroup_info 0
		.amdhsa_system_vgpr_workitem_id 0
		.amdhsa_next_free_vgpr 20
		.amdhsa_next_free_sgpr 16
		.amdhsa_reserve_vcc 1
		.amdhsa_reserve_flat_scratch 0
		.amdhsa_float_round_mode_32 0
		.amdhsa_float_round_mode_16_64 0
		.amdhsa_float_denorm_mode_32 3
		.amdhsa_float_denorm_mode_16_64 3
		.amdhsa_dx10_clamp 1
		.amdhsa_ieee_mode 1
		.amdhsa_fp16_overflow 0
		.amdhsa_exception_fp_ieee_invalid_op 0
		.amdhsa_exception_fp_denorm_src 0
		.amdhsa_exception_fp_ieee_div_zero 0
		.amdhsa_exception_fp_ieee_overflow 0
		.amdhsa_exception_fp_ieee_underflow 0
		.amdhsa_exception_fp_ieee_inexact 0
		.amdhsa_exception_int_div_zero 0
	.end_amdhsa_kernel
	.section	.text._ZN7rocprim6detail19block_reduce_kernelILb0ELb1ELj1ENS0_21wrapped_reduce_configINS_14default_configEdEEdPdS5_dNS_4plusIdEEEEvT4_mT5_T6_T7_,"axG",@progbits,_ZN7rocprim6detail19block_reduce_kernelILb0ELb1ELj1ENS0_21wrapped_reduce_configINS_14default_configEdEEdPdS5_dNS_4plusIdEEEEvT4_mT5_T6_T7_,comdat
.Lfunc_end0:
	.size	_ZN7rocprim6detail19block_reduce_kernelILb0ELb1ELj1ENS0_21wrapped_reduce_configINS_14default_configEdEEdPdS5_dNS_4plusIdEEEEvT4_mT5_T6_T7_, .Lfunc_end0-_ZN7rocprim6detail19block_reduce_kernelILb0ELb1ELj1ENS0_21wrapped_reduce_configINS_14default_configEdEEdPdS5_dNS_4plusIdEEEEvT4_mT5_T6_T7_
                                        ; -- End function
	.set _ZN7rocprim6detail19block_reduce_kernelILb0ELb1ELj1ENS0_21wrapped_reduce_configINS_14default_configEdEEdPdS5_dNS_4plusIdEEEEvT4_mT5_T6_T7_.num_vgpr, 20
	.set _ZN7rocprim6detail19block_reduce_kernelILb0ELb1ELj1ENS0_21wrapped_reduce_configINS_14default_configEdEEdPdS5_dNS_4plusIdEEEEvT4_mT5_T6_T7_.num_agpr, 0
	.set _ZN7rocprim6detail19block_reduce_kernelILb0ELb1ELj1ENS0_21wrapped_reduce_configINS_14default_configEdEEdPdS5_dNS_4plusIdEEEEvT4_mT5_T6_T7_.numbered_sgpr, 16
	.set _ZN7rocprim6detail19block_reduce_kernelILb0ELb1ELj1ENS0_21wrapped_reduce_configINS_14default_configEdEEdPdS5_dNS_4plusIdEEEEvT4_mT5_T6_T7_.num_named_barrier, 0
	.set _ZN7rocprim6detail19block_reduce_kernelILb0ELb1ELj1ENS0_21wrapped_reduce_configINS_14default_configEdEEdPdS5_dNS_4plusIdEEEEvT4_mT5_T6_T7_.private_seg_size, 0
	.set _ZN7rocprim6detail19block_reduce_kernelILb0ELb1ELj1ENS0_21wrapped_reduce_configINS_14default_configEdEEdPdS5_dNS_4plusIdEEEEvT4_mT5_T6_T7_.uses_vcc, 1
	.set _ZN7rocprim6detail19block_reduce_kernelILb0ELb1ELj1ENS0_21wrapped_reduce_configINS_14default_configEdEEdPdS5_dNS_4plusIdEEEEvT4_mT5_T6_T7_.uses_flat_scratch, 0
	.set _ZN7rocprim6detail19block_reduce_kernelILb0ELb1ELj1ENS0_21wrapped_reduce_configINS_14default_configEdEEdPdS5_dNS_4plusIdEEEEvT4_mT5_T6_T7_.has_dyn_sized_stack, 0
	.set _ZN7rocprim6detail19block_reduce_kernelILb0ELb1ELj1ENS0_21wrapped_reduce_configINS_14default_configEdEEdPdS5_dNS_4plusIdEEEEvT4_mT5_T6_T7_.has_recursion, 0
	.set _ZN7rocprim6detail19block_reduce_kernelILb0ELb1ELj1ENS0_21wrapped_reduce_configINS_14default_configEdEEdPdS5_dNS_4plusIdEEEEvT4_mT5_T6_T7_.has_indirect_call, 0
	.section	.AMDGPU.csdata,"",@progbits
; Kernel info:
; codeLenInByte = 1412
; TotalNumSgprs: 20
; NumVgprs: 20
; ScratchSize: 0
; MemoryBound: 1
; FloatMode: 240
; IeeeMode: 1
; LDSByteSize: 32 bytes/workgroup (compile time only)
; SGPRBlocks: 2
; VGPRBlocks: 4
; NumSGPRsForWavesPerEU: 20
; NumVGPRsForWavesPerEU: 20
; Occupancy: 10
; WaveLimiterHint : 1
; COMPUTE_PGM_RSRC2:SCRATCH_EN: 0
; COMPUTE_PGM_RSRC2:USER_SGPR: 6
; COMPUTE_PGM_RSRC2:TRAP_HANDLER: 0
; COMPUTE_PGM_RSRC2:TGID_X_EN: 1
; COMPUTE_PGM_RSRC2:TGID_Y_EN: 0
; COMPUTE_PGM_RSRC2:TGID_Z_EN: 0
; COMPUTE_PGM_RSRC2:TIDIG_COMP_CNT: 0
	.section	.text._ZN7rocprim6detail19block_reduce_kernelILb1ELb1ELj2ENS0_21wrapped_reduce_configINS_14default_configEdEEdPdS5_dNS_4plusIdEEEEvT4_mT5_T6_T7_,"axG",@progbits,_ZN7rocprim6detail19block_reduce_kernelILb1ELb1ELj2ENS0_21wrapped_reduce_configINS_14default_configEdEEdPdS5_dNS_4plusIdEEEEvT4_mT5_T6_T7_,comdat
	.protected	_ZN7rocprim6detail19block_reduce_kernelILb1ELb1ELj2ENS0_21wrapped_reduce_configINS_14default_configEdEEdPdS5_dNS_4plusIdEEEEvT4_mT5_T6_T7_ ; -- Begin function _ZN7rocprim6detail19block_reduce_kernelILb1ELb1ELj2ENS0_21wrapped_reduce_configINS_14default_configEdEEdPdS5_dNS_4plusIdEEEEvT4_mT5_T6_T7_
	.globl	_ZN7rocprim6detail19block_reduce_kernelILb1ELb1ELj2ENS0_21wrapped_reduce_configINS_14default_configEdEEdPdS5_dNS_4plusIdEEEEvT4_mT5_T6_T7_
	.p2align	8
	.type	_ZN7rocprim6detail19block_reduce_kernelILb1ELb1ELj2ENS0_21wrapped_reduce_configINS_14default_configEdEEdPdS5_dNS_4plusIdEEEEvT4_mT5_T6_T7_,@function
_ZN7rocprim6detail19block_reduce_kernelILb1ELb1ELj2ENS0_21wrapped_reduce_configINS_14default_configEdEEdPdS5_dNS_4plusIdEEEEvT4_mT5_T6_T7_: ; @_ZN7rocprim6detail19block_reduce_kernelILb1ELb1ELj2ENS0_21wrapped_reduce_configINS_14default_configEdEEdPdS5_dNS_4plusIdEEEEvT4_mT5_T6_T7_
; %bb.0:
	s_load_dwordx8 s[16:23], s[4:5], 0x0
	s_lshl_b32 s0, s6, 10
	s_mov_b32 s1, 0
	s_lshl_b64 s[4:5], s[0:1], 3
	s_mov_b32 s7, s1
	s_waitcnt lgkmcnt(0)
	s_lshr_b64 s[2:3], s[18:19], 10
	s_add_u32 s1, s16, s4
	s_addc_u32 s4, s17, s5
	v_lshlrev_b32_e32 v1, 3, v0
	v_mov_b32_e32 v2, s4
	v_add_co_u32_e32 v17, vcc, s1, v1
	s_cmp_lg_u64 s[2:3], s[6:7]
	v_addc_co_u32_e32 v18, vcc, 0, v2, vcc
	v_mbcnt_lo_u32_b32 v19, -1, 0
	s_cbranch_scc0 .LBB1_6
; %bb.1:
	global_load_dwordx2 v[1:2], v[17:18], off
	global_load_dwordx2 v[3:4], v[17:18], off offset:1024
	global_load_dwordx2 v[5:6], v[17:18], off offset:2048
	;; [unrolled: 1-line block ×3, first 2 shown]
	v_add_co_u32_e32 v9, vcc, 0x1000, v17
	v_addc_co_u32_e32 v10, vcc, 0, v18, vcc
	global_load_dwordx2 v[11:12], v[9:10], off
	global_load_dwordx2 v[13:14], v[9:10], off offset:1024
	global_load_dwordx2 v[15:16], v[9:10], off offset:2048
	;; [unrolled: 1-line block ×3, first 2 shown]
	s_waitcnt vmcnt(6)
	v_add_f64 v[1:2], v[1:2], v[3:4]
	s_waitcnt vmcnt(5)
	v_add_f64 v[1:2], v[1:2], v[5:6]
	;; [unrolled: 2-line block ×7, first 2 shown]
	s_nop 1
	v_mov_b32_dpp v3, v1 quad_perm:[1,0,3,2] row_mask:0xf bank_mask:0xf
	v_mov_b32_dpp v4, v2 quad_perm:[1,0,3,2] row_mask:0xf bank_mask:0xf
	v_add_f64 v[1:2], v[1:2], v[3:4]
	s_nop 1
	v_mov_b32_dpp v3, v1 quad_perm:[2,3,0,1] row_mask:0xf bank_mask:0xf
	v_mov_b32_dpp v4, v2 quad_perm:[2,3,0,1] row_mask:0xf bank_mask:0xf
	v_add_f64 v[1:2], v[1:2], v[3:4]
	s_nop 1
	v_mov_b32_dpp v3, v1 row_ror:4 row_mask:0xf bank_mask:0xf
	v_mov_b32_dpp v4, v2 row_ror:4 row_mask:0xf bank_mask:0xf
	v_add_f64 v[1:2], v[1:2], v[3:4]
	s_nop 1
	v_mov_b32_dpp v3, v1 row_ror:8 row_mask:0xf bank_mask:0xf
	v_mov_b32_dpp v4, v2 row_ror:8 row_mask:0xf bank_mask:0xf
	v_add_f64 v[1:2], v[1:2], v[3:4]
	s_nop 1
	v_mov_b32_dpp v3, v1 row_bcast:15 row_mask:0xf bank_mask:0xf
	v_mov_b32_dpp v4, v2 row_bcast:15 row_mask:0xf bank_mask:0xf
	v_add_f64 v[1:2], v[1:2], v[3:4]
	s_nop 1
	v_mov_b32_dpp v3, v1 row_bcast:31 row_mask:0xf bank_mask:0xf
	v_mov_b32_dpp v4, v2 row_bcast:31 row_mask:0xf bank_mask:0xf
	v_add_f64 v[1:2], v[1:2], v[3:4]
	v_mbcnt_hi_u32_b32 v4, -1, v19
	v_lshlrev_b32_e32 v3, 2, v4
	v_or_b32_e32 v5, 0xfc, v3
	v_cmp_eq_u32_e32 vcc, 0, v4
	ds_bpermute_b32 v1, v5, v1
	ds_bpermute_b32 v2, v5, v2
	s_and_saveexec_b64 s[2:3], vcc
	s_cbranch_execz .LBB1_3
; %bb.2:
	v_lshrrev_b32_e32 v5, 3, v0
	v_and_b32_e32 v5, 8, v5
	s_waitcnt lgkmcnt(0)
	ds_write_b64 v5, v[1:2]
.LBB1_3:
	s_or_b64 exec, exec, s[2:3]
	v_cmp_gt_u32_e32 vcc, 64, v0
	s_waitcnt lgkmcnt(0)
	s_barrier
	s_and_saveexec_b64 s[2:3], vcc
	s_cbranch_execz .LBB1_5
; %bb.4:
	v_and_b32_e32 v1, 1, v4
	v_lshlrev_b32_e32 v1, 3, v1
	ds_read_b64 v[1:2], v1
	v_or_b32_e32 v4, 4, v3
	s_waitcnt lgkmcnt(0)
	ds_bpermute_b32 v3, v4, v1
	ds_bpermute_b32 v4, v4, v2
	s_waitcnt lgkmcnt(0)
	v_add_f64 v[1:2], v[1:2], v[3:4]
.LBB1_5:
	s_or_b64 exec, exec, s[2:3]
	s_branch .LBB1_38
.LBB1_6:
                                        ; implicit-def: $vgpr1_vgpr2
	s_cbranch_execz .LBB1_38
; %bb.7:
	s_sub_i32 s24, s18, s0
	v_mov_b32_e32 v1, 0
	v_cmp_gt_u32_e32 vcc, s24, v0
	v_mov_b32_e32 v2, v1
	v_mov_b32_e32 v3, v1
	;; [unrolled: 1-line block ×15, first 2 shown]
	s_and_saveexec_b64 s[0:1], vcc
	s_cbranch_execz .LBB1_9
; %bb.8:
	v_mov_b32_e32 v3, v1
	v_mov_b32_e32 v4, v1
	;; [unrolled: 1-line block ×14, first 2 shown]
	global_load_dwordx2 v[1:2], v[17:18], off
.LBB1_9:
	s_or_b64 exec, exec, s[0:1]
	v_or_b32_e32 v20, 0x80, v0
	v_cmp_gt_u32_e64 s[0:1], s24, v20
	s_and_saveexec_b64 s[2:3], s[0:1]
	s_cbranch_execz .LBB1_11
; %bb.10:
	global_load_dwordx2 v[3:4], v[17:18], off offset:1024
.LBB1_11:
	s_or_b64 exec, exec, s[2:3]
	v_or_b32_e32 v20, 0x100, v0
	v_cmp_gt_u32_e64 s[2:3], s24, v20
	s_and_saveexec_b64 s[4:5], s[2:3]
	s_cbranch_execz .LBB1_13
; %bb.12:
	global_load_dwordx2 v[5:6], v[17:18], off offset:2048
.LBB1_13:
	s_or_b64 exec, exec, s[4:5]
	v_or_b32_e32 v20, 0x180, v0
	v_cmp_gt_u32_e64 s[4:5], s24, v20
	s_and_saveexec_b64 s[8:9], s[4:5]
	s_cbranch_execz .LBB1_15
; %bb.14:
	global_load_dwordx2 v[7:8], v[17:18], off offset:3072
.LBB1_15:
	s_or_b64 exec, exec, s[8:9]
	v_or_b32_e32 v20, 0x200, v0
	v_cmp_gt_u32_e64 s[8:9], s24, v20
	s_and_saveexec_b64 s[10:11], s[8:9]
	s_cbranch_execz .LBB1_17
; %bb.16:
	v_add_co_u32_e32 v9, vcc, 0x1000, v17
	v_addc_co_u32_e32 v10, vcc, 0, v18, vcc
	global_load_dwordx2 v[9:10], v[9:10], off
.LBB1_17:
	s_or_b64 exec, exec, s[10:11]
	v_or_b32_e32 v20, 0x280, v0
	v_cmp_gt_u32_e64 s[10:11], s24, v20
	s_and_saveexec_b64 s[12:13], s[10:11]
	s_cbranch_execz .LBB1_19
; %bb.18:
	v_add_co_u32_e32 v11, vcc, 0x1000, v17
	v_addc_co_u32_e32 v12, vcc, 0, v18, vcc
	global_load_dwordx2 v[11:12], v[11:12], off offset:1024
.LBB1_19:
	s_or_b64 exec, exec, s[12:13]
	v_or_b32_e32 v20, 0x300, v0
	v_cmp_gt_u32_e64 s[12:13], s24, v20
	s_and_saveexec_b64 s[14:15], s[12:13]
	s_cbranch_execz .LBB1_21
; %bb.20:
	v_add_co_u32_e32 v13, vcc, 0x1000, v17
	v_addc_co_u32_e32 v14, vcc, 0, v18, vcc
	global_load_dwordx2 v[13:14], v[13:14], off offset:2048
.LBB1_21:
	;; [unrolled: 10-line block ×3, first 2 shown]
	s_or_b64 exec, exec, s[16:17]
	s_waitcnt vmcnt(0)
	v_add_f64 v[3:4], v[1:2], v[3:4]
	v_cndmask_b32_e64 v2, v2, v4, s[0:1]
	v_cndmask_b32_e64 v1, v1, v3, s[0:1]
	v_add_f64 v[3:4], v[5:6], v[1:2]
	v_mbcnt_hi_u32_b32 v5, -1, v19
	v_cndmask_b32_e64 v2, v2, v4, s[2:3]
	v_cndmask_b32_e64 v1, v1, v3, s[2:3]
	v_add_f64 v[3:4], v[7:8], v[1:2]
	v_and_b32_e32 v7, 63, v5
	v_cmp_ne_u32_e32 vcc, 63, v7
	v_addc_co_u32_e32 v6, vcc, 0, v5, vcc
	v_lshlrev_b32_e32 v6, 2, v6
	s_min_u32 s2, s24, 0x80
	v_add_u32_e32 v8, 1, v5
	v_cndmask_b32_e64 v2, v2, v4, s[4:5]
	v_cndmask_b32_e64 v1, v1, v3, s[4:5]
	v_add_f64 v[3:4], v[9:10], v[1:2]
	v_cndmask_b32_e64 v2, v2, v4, s[8:9]
	v_cndmask_b32_e64 v1, v1, v3, s[8:9]
	v_add_f64 v[3:4], v[11:12], v[1:2]
	;; [unrolled: 3-line block ×4, first 2 shown]
	v_cndmask_b32_e64 v2, v2, v4, s[14:15]
	v_cndmask_b32_e64 v1, v1, v3, s[14:15]
	ds_bpermute_b32 v3, v6, v1
	ds_bpermute_b32 v4, v6, v2
	v_and_b32_e32 v6, 64, v0
	v_sub_u32_e64 v6, s2, v6 clamp
	v_cmp_lt_u32_e32 vcc, v8, v6
	s_and_saveexec_b64 s[0:1], vcc
	s_cbranch_execz .LBB1_25
; %bb.24:
	s_waitcnt lgkmcnt(0)
	v_add_f64 v[1:2], v[1:2], v[3:4]
.LBB1_25:
	s_or_b64 exec, exec, s[0:1]
	v_cmp_gt_u32_e32 vcc, 62, v7
	s_waitcnt lgkmcnt(1)
	v_cndmask_b32_e64 v3, 0, 2, vcc
	s_waitcnt lgkmcnt(0)
	v_add_lshl_u32 v4, v3, v5, 2
	ds_bpermute_b32 v3, v4, v1
	ds_bpermute_b32 v4, v4, v2
	v_add_u32_e32 v8, 2, v5
	v_cmp_lt_u32_e32 vcc, v8, v6
	s_and_saveexec_b64 s[0:1], vcc
	s_cbranch_execz .LBB1_27
; %bb.26:
	s_waitcnt lgkmcnt(0)
	v_add_f64 v[1:2], v[1:2], v[3:4]
.LBB1_27:
	s_or_b64 exec, exec, s[0:1]
	v_cmp_gt_u32_e32 vcc, 60, v7
	s_waitcnt lgkmcnt(1)
	v_cndmask_b32_e64 v3, 0, 4, vcc
	s_waitcnt lgkmcnt(0)
	v_add_lshl_u32 v4, v3, v5, 2
	ds_bpermute_b32 v3, v4, v1
	ds_bpermute_b32 v4, v4, v2
	v_add_u32_e32 v8, 4, v5
	;; [unrolled: 16-line block ×4, first 2 shown]
	v_cmp_lt_u32_e32 vcc, v7, v6
	s_and_saveexec_b64 s[0:1], vcc
	s_cbranch_execz .LBB1_33
; %bb.32:
	s_waitcnt lgkmcnt(0)
	v_add_f64 v[1:2], v[1:2], v[3:4]
.LBB1_33:
	s_or_b64 exec, exec, s[0:1]
	s_waitcnt lgkmcnt(1)
	v_lshlrev_b32_e32 v3, 2, v5
	s_waitcnt lgkmcnt(0)
	v_or_b32_e32 v4, 0x80, v3
	ds_bpermute_b32 v7, v4, v1
	ds_bpermute_b32 v8, v4, v2
	v_add_u32_e32 v4, 32, v5
	v_cmp_lt_u32_e32 vcc, v4, v6
	s_waitcnt lgkmcnt(0)
	v_add_f64 v[7:8], v[1:2], v[7:8]
	v_cndmask_b32_e32 v2, v2, v8, vcc
	v_cndmask_b32_e32 v1, v1, v7, vcc
	v_cmp_eq_u32_e32 vcc, 0, v5
	s_and_saveexec_b64 s[0:1], vcc
; %bb.34:
	v_lshrrev_b32_e32 v4, 3, v0
	v_and_b32_e32 v4, 8, v4
	ds_write_b64 v4, v[1:2] offset:16
; %bb.35:
	s_or_b64 exec, exec, s[0:1]
	v_cmp_gt_u32_e32 vcc, 2, v0
	s_waitcnt lgkmcnt(0)
	s_barrier
	s_and_saveexec_b64 s[0:1], vcc
	s_cbranch_execz .LBB1_37
; %bb.36:
	v_lshlrev_b32_e32 v1, 3, v5
	ds_read_b64 v[1:2], v1 offset:16
	v_or_b32_e32 v4, 4, v3
	s_add_i32 s2, s2, 63
	v_and_b32_e32 v5, 1, v5
	s_lshr_b32 s2, s2, 6
	s_waitcnt lgkmcnt(0)
	ds_bpermute_b32 v3, v4, v1
	ds_bpermute_b32 v4, v4, v2
	v_add_u32_e32 v5, 1, v5
	v_cmp_gt_u32_e32 vcc, s2, v5
	s_waitcnt lgkmcnt(0)
	v_add_f64 v[3:4], v[1:2], v[3:4]
	v_cndmask_b32_e32 v2, v2, v4, vcc
	v_cndmask_b32_e32 v1, v1, v3, vcc
.LBB1_37:
	s_or_b64 exec, exec, s[0:1]
.LBB1_38:
	v_cmp_eq_u32_e32 vcc, 0, v0
	s_and_saveexec_b64 s[0:1], vcc
	s_cbranch_execnz .LBB1_40
; %bb.39:
	s_endpgm
.LBB1_40:
	v_add_f64 v[0:1], s[22:23], v[1:2]
	s_lshl_b64 s[0:1], s[6:7], 3
	s_add_u32 s0, s20, s0
	s_addc_u32 s1, s21, s1
	s_cmp_eq_u64 s[18:19], 0
	v_mov_b32_e32 v3, s23
	s_cselect_b64 vcc, -1, 0
	v_mov_b32_e32 v2, 0
	v_cndmask_b32_e32 v1, v1, v3, vcc
	v_mov_b32_e32 v3, s22
	v_cndmask_b32_e32 v0, v0, v3, vcc
	global_store_dwordx2 v2, v[0:1], s[0:1]
	s_endpgm
	.section	.rodata,"a",@progbits
	.p2align	6, 0x0
	.amdhsa_kernel _ZN7rocprim6detail19block_reduce_kernelILb1ELb1ELj2ENS0_21wrapped_reduce_configINS_14default_configEdEEdPdS5_dNS_4plusIdEEEEvT4_mT5_T6_T7_
		.amdhsa_group_segment_fixed_size 32
		.amdhsa_private_segment_fixed_size 0
		.amdhsa_kernarg_size 36
		.amdhsa_user_sgpr_count 6
		.amdhsa_user_sgpr_private_segment_buffer 1
		.amdhsa_user_sgpr_dispatch_ptr 0
		.amdhsa_user_sgpr_queue_ptr 0
		.amdhsa_user_sgpr_kernarg_segment_ptr 1
		.amdhsa_user_sgpr_dispatch_id 0
		.amdhsa_user_sgpr_flat_scratch_init 0
		.amdhsa_user_sgpr_private_segment_size 0
		.amdhsa_uses_dynamic_stack 0
		.amdhsa_system_sgpr_private_segment_wavefront_offset 0
		.amdhsa_system_sgpr_workgroup_id_x 1
		.amdhsa_system_sgpr_workgroup_id_y 0
		.amdhsa_system_sgpr_workgroup_id_z 0
		.amdhsa_system_sgpr_workgroup_info 0
		.amdhsa_system_vgpr_workitem_id 0
		.amdhsa_next_free_vgpr 22
		.amdhsa_next_free_sgpr 25
		.amdhsa_reserve_vcc 1
		.amdhsa_reserve_flat_scratch 0
		.amdhsa_float_round_mode_32 0
		.amdhsa_float_round_mode_16_64 0
		.amdhsa_float_denorm_mode_32 3
		.amdhsa_float_denorm_mode_16_64 3
		.amdhsa_dx10_clamp 1
		.amdhsa_ieee_mode 1
		.amdhsa_fp16_overflow 0
		.amdhsa_exception_fp_ieee_invalid_op 0
		.amdhsa_exception_fp_denorm_src 0
		.amdhsa_exception_fp_ieee_div_zero 0
		.amdhsa_exception_fp_ieee_overflow 0
		.amdhsa_exception_fp_ieee_underflow 0
		.amdhsa_exception_fp_ieee_inexact 0
		.amdhsa_exception_int_div_zero 0
	.end_amdhsa_kernel
	.section	.text._ZN7rocprim6detail19block_reduce_kernelILb1ELb1ELj2ENS0_21wrapped_reduce_configINS_14default_configEdEEdPdS5_dNS_4plusIdEEEEvT4_mT5_T6_T7_,"axG",@progbits,_ZN7rocprim6detail19block_reduce_kernelILb1ELb1ELj2ENS0_21wrapped_reduce_configINS_14default_configEdEEdPdS5_dNS_4plusIdEEEEvT4_mT5_T6_T7_,comdat
.Lfunc_end1:
	.size	_ZN7rocprim6detail19block_reduce_kernelILb1ELb1ELj2ENS0_21wrapped_reduce_configINS_14default_configEdEEdPdS5_dNS_4plusIdEEEEvT4_mT5_T6_T7_, .Lfunc_end1-_ZN7rocprim6detail19block_reduce_kernelILb1ELb1ELj2ENS0_21wrapped_reduce_configINS_14default_configEdEEdPdS5_dNS_4plusIdEEEEvT4_mT5_T6_T7_
                                        ; -- End function
	.set _ZN7rocprim6detail19block_reduce_kernelILb1ELb1ELj2ENS0_21wrapped_reduce_configINS_14default_configEdEEdPdS5_dNS_4plusIdEEEEvT4_mT5_T6_T7_.num_vgpr, 22
	.set _ZN7rocprim6detail19block_reduce_kernelILb1ELb1ELj2ENS0_21wrapped_reduce_configINS_14default_configEdEEdPdS5_dNS_4plusIdEEEEvT4_mT5_T6_T7_.num_agpr, 0
	.set _ZN7rocprim6detail19block_reduce_kernelILb1ELb1ELj2ENS0_21wrapped_reduce_configINS_14default_configEdEEdPdS5_dNS_4plusIdEEEEvT4_mT5_T6_T7_.numbered_sgpr, 25
	.set _ZN7rocprim6detail19block_reduce_kernelILb1ELb1ELj2ENS0_21wrapped_reduce_configINS_14default_configEdEEdPdS5_dNS_4plusIdEEEEvT4_mT5_T6_T7_.num_named_barrier, 0
	.set _ZN7rocprim6detail19block_reduce_kernelILb1ELb1ELj2ENS0_21wrapped_reduce_configINS_14default_configEdEEdPdS5_dNS_4plusIdEEEEvT4_mT5_T6_T7_.private_seg_size, 0
	.set _ZN7rocprim6detail19block_reduce_kernelILb1ELb1ELj2ENS0_21wrapped_reduce_configINS_14default_configEdEEdPdS5_dNS_4plusIdEEEEvT4_mT5_T6_T7_.uses_vcc, 1
	.set _ZN7rocprim6detail19block_reduce_kernelILb1ELb1ELj2ENS0_21wrapped_reduce_configINS_14default_configEdEEdPdS5_dNS_4plusIdEEEEvT4_mT5_T6_T7_.uses_flat_scratch, 0
	.set _ZN7rocprim6detail19block_reduce_kernelILb1ELb1ELj2ENS0_21wrapped_reduce_configINS_14default_configEdEEdPdS5_dNS_4plusIdEEEEvT4_mT5_T6_T7_.has_dyn_sized_stack, 0
	.set _ZN7rocprim6detail19block_reduce_kernelILb1ELb1ELj2ENS0_21wrapped_reduce_configINS_14default_configEdEEdPdS5_dNS_4plusIdEEEEvT4_mT5_T6_T7_.has_recursion, 0
	.set _ZN7rocprim6detail19block_reduce_kernelILb1ELb1ELj2ENS0_21wrapped_reduce_configINS_14default_configEdEEdPdS5_dNS_4plusIdEEEEvT4_mT5_T6_T7_.has_indirect_call, 0
	.section	.AMDGPU.csdata,"",@progbits
; Kernel info:
; codeLenInByte = 1840
; TotalNumSgprs: 29
; NumVgprs: 22
; ScratchSize: 0
; MemoryBound: 1
; FloatMode: 240
; IeeeMode: 1
; LDSByteSize: 32 bytes/workgroup (compile time only)
; SGPRBlocks: 3
; VGPRBlocks: 5
; NumSGPRsForWavesPerEU: 29
; NumVGPRsForWavesPerEU: 22
; Occupancy: 10
; WaveLimiterHint : 1
; COMPUTE_PGM_RSRC2:SCRATCH_EN: 0
; COMPUTE_PGM_RSRC2:USER_SGPR: 6
; COMPUTE_PGM_RSRC2:TRAP_HANDLER: 0
; COMPUTE_PGM_RSRC2:TGID_X_EN: 1
; COMPUTE_PGM_RSRC2:TGID_Y_EN: 0
; COMPUTE_PGM_RSRC2:TGID_Z_EN: 0
; COMPUTE_PGM_RSRC2:TIDIG_COMP_CNT: 0
	.section	.text._ZN7rocprim6detail19block_reduce_kernelILb1ELb1ELj4ENS0_21wrapped_reduce_configINS_14default_configEdEEdPdS5_dNS_4plusIdEEEEvT4_mT5_T6_T7_,"axG",@progbits,_ZN7rocprim6detail19block_reduce_kernelILb1ELb1ELj4ENS0_21wrapped_reduce_configINS_14default_configEdEEdPdS5_dNS_4plusIdEEEEvT4_mT5_T6_T7_,comdat
	.protected	_ZN7rocprim6detail19block_reduce_kernelILb1ELb1ELj4ENS0_21wrapped_reduce_configINS_14default_configEdEEdPdS5_dNS_4plusIdEEEEvT4_mT5_T6_T7_ ; -- Begin function _ZN7rocprim6detail19block_reduce_kernelILb1ELb1ELj4ENS0_21wrapped_reduce_configINS_14default_configEdEEdPdS5_dNS_4plusIdEEEEvT4_mT5_T6_T7_
	.globl	_ZN7rocprim6detail19block_reduce_kernelILb1ELb1ELj4ENS0_21wrapped_reduce_configINS_14default_configEdEEdPdS5_dNS_4plusIdEEEEvT4_mT5_T6_T7_
	.p2align	8
	.type	_ZN7rocprim6detail19block_reduce_kernelILb1ELb1ELj4ENS0_21wrapped_reduce_configINS_14default_configEdEEdPdS5_dNS_4plusIdEEEEvT4_mT5_T6_T7_,@function
_ZN7rocprim6detail19block_reduce_kernelILb1ELb1ELj4ENS0_21wrapped_reduce_configINS_14default_configEdEEdPdS5_dNS_4plusIdEEEEvT4_mT5_T6_T7_: ; @_ZN7rocprim6detail19block_reduce_kernelILb1ELb1ELj4ENS0_21wrapped_reduce_configINS_14default_configEdEEdPdS5_dNS_4plusIdEEEEvT4_mT5_T6_T7_
; %bb.0:
	s_load_dwordx8 s[36:43], s[4:5], 0x0
	s_lshl_b32 s0, s6, 11
	s_mov_b32 s1, 0
	s_lshl_b64 s[4:5], s[0:1], 3
	s_mov_b32 s7, s1
	s_waitcnt lgkmcnt(0)
	s_lshr_b64 s[2:3], s[38:39], 11
	s_add_u32 s1, s36, s4
	s_addc_u32 s4, s37, s5
	v_lshlrev_b32_e32 v1, 3, v0
	v_mov_b32_e32 v2, s4
	v_add_co_u32_e32 v1, vcc, s1, v1
	s_cmp_lg_u64 s[2:3], s[6:7]
	v_addc_co_u32_e32 v2, vcc, 0, v2, vcc
	v_mbcnt_lo_u32_b32 v35, -1, 0
	s_cbranch_scc0 .LBB2_6
; %bb.1:
	global_load_dwordx2 v[3:4], v[1:2], off
	global_load_dwordx2 v[5:6], v[1:2], off offset:1024
	global_load_dwordx2 v[7:8], v[1:2], off offset:2048
	;; [unrolled: 1-line block ×3, first 2 shown]
	v_add_co_u32_e32 v11, vcc, 0x1000, v1
	v_addc_co_u32_e32 v12, vcc, 0, v2, vcc
	global_load_dwordx2 v[13:14], v[11:12], off
	global_load_dwordx2 v[15:16], v[11:12], off offset:1024
	global_load_dwordx2 v[17:18], v[11:12], off offset:2048
	;; [unrolled: 1-line block ×3, first 2 shown]
	v_add_co_u32_e32 v11, vcc, 0x2000, v1
	v_addc_co_u32_e32 v12, vcc, 0, v2, vcc
	global_load_dwordx2 v[21:22], v[11:12], off
	global_load_dwordx2 v[23:24], v[11:12], off offset:1024
	global_load_dwordx2 v[25:26], v[11:12], off offset:2048
	s_waitcnt vmcnt(9)
	v_add_f64 v[3:4], v[3:4], v[5:6]
	global_load_dwordx2 v[5:6], v[11:12], off offset:3072
	v_add_co_u32_e32 v11, vcc, 0x3000, v1
	v_addc_co_u32_e32 v12, vcc, 0, v2, vcc
	s_waitcnt vmcnt(9)
	v_add_f64 v[3:4], v[3:4], v[7:8]
	global_load_dwordx2 v[7:8], v[11:12], off
	s_waitcnt vmcnt(9)
	v_add_f64 v[3:4], v[3:4], v[9:10]
	global_load_dwordx2 v[9:10], v[11:12], off offset:1024
	s_waitcnt vmcnt(9)
	v_add_f64 v[3:4], v[3:4], v[13:14]
	global_load_dwordx2 v[13:14], v[11:12], off offset:2048
	global_load_dwordx2 v[27:28], v[11:12], off offset:3072
	s_waitcnt vmcnt(10)
	v_add_f64 v[3:4], v[3:4], v[15:16]
	s_waitcnt vmcnt(9)
	v_add_f64 v[3:4], v[3:4], v[17:18]
	;; [unrolled: 2-line block ×11, first 2 shown]
	s_nop 1
	v_mov_b32_dpp v5, v3 quad_perm:[1,0,3,2] row_mask:0xf bank_mask:0xf
	v_mov_b32_dpp v6, v4 quad_perm:[1,0,3,2] row_mask:0xf bank_mask:0xf
	v_add_f64 v[3:4], v[3:4], v[5:6]
	s_nop 1
	v_mov_b32_dpp v5, v3 quad_perm:[2,3,0,1] row_mask:0xf bank_mask:0xf
	v_mov_b32_dpp v6, v4 quad_perm:[2,3,0,1] row_mask:0xf bank_mask:0xf
	v_add_f64 v[3:4], v[3:4], v[5:6]
	s_nop 1
	v_mov_b32_dpp v5, v3 row_ror:4 row_mask:0xf bank_mask:0xf
	v_mov_b32_dpp v6, v4 row_ror:4 row_mask:0xf bank_mask:0xf
	v_add_f64 v[3:4], v[3:4], v[5:6]
	s_nop 1
	v_mov_b32_dpp v5, v3 row_ror:8 row_mask:0xf bank_mask:0xf
	v_mov_b32_dpp v6, v4 row_ror:8 row_mask:0xf bank_mask:0xf
	v_add_f64 v[3:4], v[3:4], v[5:6]
	s_nop 1
	v_mov_b32_dpp v5, v3 row_bcast:15 row_mask:0xf bank_mask:0xf
	v_mov_b32_dpp v6, v4 row_bcast:15 row_mask:0xf bank_mask:0xf
	v_add_f64 v[3:4], v[3:4], v[5:6]
	s_nop 1
	v_mov_b32_dpp v5, v3 row_bcast:31 row_mask:0xf bank_mask:0xf
	v_mov_b32_dpp v6, v4 row_bcast:31 row_mask:0xf bank_mask:0xf
	v_add_f64 v[3:4], v[3:4], v[5:6]
	v_mbcnt_hi_u32_b32 v6, -1, v35
	v_lshlrev_b32_e32 v5, 2, v6
	v_or_b32_e32 v7, 0xfc, v5
	v_cmp_eq_u32_e32 vcc, 0, v6
	ds_bpermute_b32 v3, v7, v3
	ds_bpermute_b32 v4, v7, v4
	s_and_saveexec_b64 s[2:3], vcc
	s_cbranch_execz .LBB2_3
; %bb.2:
	v_lshrrev_b32_e32 v7, 3, v0
	v_and_b32_e32 v7, 8, v7
	s_waitcnt lgkmcnt(0)
	ds_write_b64 v7, v[3:4]
.LBB2_3:
	s_or_b64 exec, exec, s[2:3]
	v_cmp_gt_u32_e32 vcc, 64, v0
	s_waitcnt lgkmcnt(0)
	s_barrier
	s_and_saveexec_b64 s[2:3], vcc
	s_cbranch_execz .LBB2_5
; %bb.4:
	v_and_b32_e32 v3, 1, v6
	v_lshlrev_b32_e32 v3, 3, v3
	ds_read_b64 v[3:4], v3
	v_or_b32_e32 v6, 4, v5
	s_waitcnt lgkmcnt(0)
	ds_bpermute_b32 v5, v6, v3
	ds_bpermute_b32 v6, v6, v4
	s_waitcnt lgkmcnt(0)
	v_add_f64 v[3:4], v[3:4], v[5:6]
.LBB2_5:
	s_or_b64 exec, exec, s[2:3]
	s_branch .LBB2_54
.LBB2_6:
                                        ; implicit-def: $vgpr3_vgpr4
	s_cbranch_execz .LBB2_54
; %bb.7:
	s_sub_i32 s33, s38, s0
	v_cmp_gt_u32_e32 vcc, s33, v0
                                        ; implicit-def: $vgpr3_vgpr4
	s_and_saveexec_b64 s[0:1], vcc
	s_cbranch_execz .LBB2_9
; %bb.8:
	global_load_dwordx2 v[3:4], v[1:2], off
.LBB2_9:
	s_or_b64 exec, exec, s[0:1]
	v_or_b32_e32 v5, 0x80, v0
	v_cmp_gt_u32_e64 s[0:1], s33, v5
                                        ; implicit-def: $vgpr5_vgpr6
	s_and_saveexec_b64 s[2:3], s[0:1]
	s_cbranch_execz .LBB2_11
; %bb.10:
	global_load_dwordx2 v[5:6], v[1:2], off offset:1024
.LBB2_11:
	s_or_b64 exec, exec, s[2:3]
	v_or_b32_e32 v7, 0x100, v0
	v_cmp_gt_u32_e64 s[2:3], s33, v7
                                        ; implicit-def: $vgpr7_vgpr8
	s_and_saveexec_b64 s[4:5], s[2:3]
	s_cbranch_execz .LBB2_13
; %bb.12:
	global_load_dwordx2 v[7:8], v[1:2], off offset:2048
.LBB2_13:
	s_or_b64 exec, exec, s[4:5]
	v_or_b32_e32 v9, 0x180, v0
	v_cmp_gt_u32_e64 s[4:5], s33, v9
                                        ; implicit-def: $vgpr9_vgpr10
	s_and_saveexec_b64 s[8:9], s[4:5]
	s_cbranch_execz .LBB2_15
; %bb.14:
	global_load_dwordx2 v[9:10], v[1:2], off offset:3072
.LBB2_15:
	s_or_b64 exec, exec, s[8:9]
	v_or_b32_e32 v11, 0x200, v0
	v_cmp_gt_u32_e64 s[8:9], s33, v11
                                        ; implicit-def: $vgpr11_vgpr12
	s_and_saveexec_b64 s[10:11], s[8:9]
	s_cbranch_execz .LBB2_17
; %bb.16:
	v_add_co_u32_e32 v11, vcc, 0x1000, v1
	v_addc_co_u32_e32 v12, vcc, 0, v2, vcc
	global_load_dwordx2 v[11:12], v[11:12], off
.LBB2_17:
	s_or_b64 exec, exec, s[10:11]
	v_or_b32_e32 v13, 0x280, v0
	v_cmp_gt_u32_e64 s[10:11], s33, v13
                                        ; implicit-def: $vgpr13_vgpr14
	s_and_saveexec_b64 s[12:13], s[10:11]
	s_cbranch_execz .LBB2_19
; %bb.18:
	v_add_co_u32_e32 v13, vcc, 0x1000, v1
	v_addc_co_u32_e32 v14, vcc, 0, v2, vcc
	global_load_dwordx2 v[13:14], v[13:14], off offset:1024
.LBB2_19:
	s_or_b64 exec, exec, s[12:13]
	v_or_b32_e32 v15, 0x300, v0
	v_cmp_gt_u32_e64 s[12:13], s33, v15
                                        ; implicit-def: $vgpr15_vgpr16
	s_and_saveexec_b64 s[14:15], s[12:13]
	s_cbranch_execz .LBB2_21
; %bb.20:
	v_add_co_u32_e32 v15, vcc, 0x1000, v1
	v_addc_co_u32_e32 v16, vcc, 0, v2, vcc
	global_load_dwordx2 v[15:16], v[15:16], off offset:2048
.LBB2_21:
	s_or_b64 exec, exec, s[14:15]
	v_or_b32_e32 v17, 0x380, v0
	v_cmp_gt_u32_e64 s[14:15], s33, v17
                                        ; implicit-def: $vgpr17_vgpr18
	s_and_saveexec_b64 s[16:17], s[14:15]
	s_cbranch_execz .LBB2_23
; %bb.22:
	v_add_co_u32_e32 v17, vcc, 0x1000, v1
	v_addc_co_u32_e32 v18, vcc, 0, v2, vcc
	global_load_dwordx2 v[17:18], v[17:18], off offset:3072
.LBB2_23:
	s_or_b64 exec, exec, s[16:17]
	v_or_b32_e32 v19, 0x400, v0
	v_cmp_gt_u32_e64 s[16:17], s33, v19
                                        ; implicit-def: $vgpr19_vgpr20
	s_and_saveexec_b64 s[18:19], s[16:17]
	s_cbranch_execz .LBB2_25
; %bb.24:
	v_add_co_u32_e32 v19, vcc, 0x2000, v1
	v_addc_co_u32_e32 v20, vcc, 0, v2, vcc
	global_load_dwordx2 v[19:20], v[19:20], off
.LBB2_25:
	s_or_b64 exec, exec, s[18:19]
	v_or_b32_e32 v21, 0x480, v0
	v_cmp_gt_u32_e64 s[18:19], s33, v21
                                        ; implicit-def: $vgpr21_vgpr22
	s_and_saveexec_b64 s[20:21], s[18:19]
	s_cbranch_execz .LBB2_27
; %bb.26:
	v_add_co_u32_e32 v21, vcc, 0x2000, v1
	v_addc_co_u32_e32 v22, vcc, 0, v2, vcc
	global_load_dwordx2 v[21:22], v[21:22], off offset:1024
.LBB2_27:
	s_or_b64 exec, exec, s[20:21]
	v_or_b32_e32 v23, 0x500, v0
	v_cmp_gt_u32_e64 s[20:21], s33, v23
                                        ; implicit-def: $vgpr23_vgpr24
	s_and_saveexec_b64 s[22:23], s[20:21]
	s_cbranch_execz .LBB2_29
; %bb.28:
	v_add_co_u32_e32 v23, vcc, 0x2000, v1
	v_addc_co_u32_e32 v24, vcc, 0, v2, vcc
	global_load_dwordx2 v[23:24], v[23:24], off offset:2048
.LBB2_29:
	s_or_b64 exec, exec, s[22:23]
	v_or_b32_e32 v25, 0x580, v0
	v_cmp_gt_u32_e64 s[22:23], s33, v25
                                        ; implicit-def: $vgpr25_vgpr26
	s_and_saveexec_b64 s[24:25], s[22:23]
	s_cbranch_execz .LBB2_31
; %bb.30:
	v_add_co_u32_e32 v25, vcc, 0x2000, v1
	v_addc_co_u32_e32 v26, vcc, 0, v2, vcc
	global_load_dwordx2 v[25:26], v[25:26], off offset:3072
.LBB2_31:
	s_or_b64 exec, exec, s[24:25]
	v_or_b32_e32 v27, 0x600, v0
	v_cmp_gt_u32_e64 s[24:25], s33, v27
                                        ; implicit-def: $vgpr27_vgpr28
	s_and_saveexec_b64 s[26:27], s[24:25]
	s_cbranch_execz .LBB2_33
; %bb.32:
	v_add_co_u32_e32 v27, vcc, 0x3000, v1
	v_addc_co_u32_e32 v28, vcc, 0, v2, vcc
	global_load_dwordx2 v[27:28], v[27:28], off
.LBB2_33:
	s_or_b64 exec, exec, s[26:27]
	v_or_b32_e32 v29, 0x680, v0
	v_cmp_gt_u32_e64 s[26:27], s33, v29
                                        ; implicit-def: $vgpr29_vgpr30
	s_and_saveexec_b64 s[28:29], s[26:27]
	s_cbranch_execz .LBB2_35
; %bb.34:
	v_add_co_u32_e32 v29, vcc, 0x3000, v1
	v_addc_co_u32_e32 v30, vcc, 0, v2, vcc
	global_load_dwordx2 v[29:30], v[29:30], off offset:1024
.LBB2_35:
	s_or_b64 exec, exec, s[28:29]
	v_or_b32_e32 v31, 0x700, v0
	v_cmp_gt_u32_e64 s[28:29], s33, v31
                                        ; implicit-def: $vgpr31_vgpr32
	s_and_saveexec_b64 s[30:31], s[28:29]
	s_cbranch_execz .LBB2_37
; %bb.36:
	v_add_co_u32_e32 v31, vcc, 0x3000, v1
	v_addc_co_u32_e32 v32, vcc, 0, v2, vcc
	global_load_dwordx2 v[31:32], v[31:32], off offset:2048
.LBB2_37:
	s_or_b64 exec, exec, s[30:31]
	v_or_b32_e32 v33, 0x780, v0
	v_cmp_gt_u32_e64 s[30:31], s33, v33
                                        ; implicit-def: $vgpr33_vgpr34
	s_and_saveexec_b64 s[34:35], s[30:31]
	s_cbranch_execz .LBB2_39
; %bb.38:
	v_add_co_u32_e32 v1, vcc, 0x3000, v1
	v_addc_co_u32_e32 v2, vcc, 0, v2, vcc
	global_load_dwordx2 v[33:34], v[1:2], off offset:3072
.LBB2_39:
	s_or_b64 exec, exec, s[34:35]
	s_waitcnt vmcnt(0)
	v_add_f64 v[1:2], v[3:4], v[5:6]
	v_mbcnt_hi_u32_b32 v5, -1, v35
	v_cndmask_b32_e64 v2, v4, v2, s[0:1]
	v_cndmask_b32_e64 v1, v3, v1, s[0:1]
	v_add_f64 v[3:4], v[1:2], v[7:8]
	v_and_b32_e32 v7, 63, v5
	v_cmp_ne_u32_e32 vcc, 63, v7
	v_addc_co_u32_e32 v6, vcc, 0, v5, vcc
	v_lshlrev_b32_e32 v6, 2, v6
	v_add_u32_e32 v8, 1, v5
	v_cndmask_b32_e64 v2, v2, v4, s[2:3]
	v_cndmask_b32_e64 v1, v1, v3, s[2:3]
	v_add_f64 v[3:4], v[1:2], v[9:10]
	s_min_u32 s2, s33, 0x80
	v_cndmask_b32_e64 v2, v2, v4, s[4:5]
	v_cndmask_b32_e64 v1, v1, v3, s[4:5]
	v_add_f64 v[3:4], v[1:2], v[11:12]
	v_cndmask_b32_e64 v2, v2, v4, s[8:9]
	v_cndmask_b32_e64 v1, v1, v3, s[8:9]
	v_add_f64 v[3:4], v[1:2], v[13:14]
	v_cndmask_b32_e64 v2, v2, v4, s[10:11]
	v_cndmask_b32_e64 v1, v1, v3, s[10:11]
	v_add_f64 v[3:4], v[1:2], v[15:16]
	v_cndmask_b32_e64 v2, v2, v4, s[12:13]
	v_cndmask_b32_e64 v1, v1, v3, s[12:13]
	v_add_f64 v[3:4], v[1:2], v[17:18]
	v_cndmask_b32_e64 v2, v2, v4, s[14:15]
	v_cndmask_b32_e64 v1, v1, v3, s[14:15]
	v_add_f64 v[3:4], v[1:2], v[19:20]
	v_cndmask_b32_e64 v2, v2, v4, s[16:17]
	v_cndmask_b32_e64 v1, v1, v3, s[16:17]
	v_add_f64 v[3:4], v[1:2], v[21:22]
	v_cndmask_b32_e64 v2, v2, v4, s[18:19]
	v_cndmask_b32_e64 v1, v1, v3, s[18:19]
	v_add_f64 v[3:4], v[1:2], v[23:24]
	v_cndmask_b32_e64 v2, v2, v4, s[20:21]
	v_cndmask_b32_e64 v1, v1, v3, s[20:21]
	v_add_f64 v[3:4], v[1:2], v[25:26]
	v_cndmask_b32_e64 v2, v2, v4, s[22:23]
	v_cndmask_b32_e64 v1, v1, v3, s[22:23]
	v_add_f64 v[3:4], v[1:2], v[27:28]
	v_cndmask_b32_e64 v2, v2, v4, s[24:25]
	v_cndmask_b32_e64 v1, v1, v3, s[24:25]
	v_add_f64 v[3:4], v[1:2], v[29:30]
	v_cndmask_b32_e64 v2, v2, v4, s[26:27]
	v_cndmask_b32_e64 v1, v1, v3, s[26:27]
	v_add_f64 v[3:4], v[1:2], v[31:32]
	v_cndmask_b32_e64 v2, v2, v4, s[28:29]
	v_cndmask_b32_e64 v1, v1, v3, s[28:29]
	v_add_f64 v[3:4], v[1:2], v[33:34]
	v_cndmask_b32_e64 v2, v2, v4, s[30:31]
	v_cndmask_b32_e64 v1, v1, v3, s[30:31]
	ds_bpermute_b32 v3, v6, v1
	ds_bpermute_b32 v4, v6, v2
	v_and_b32_e32 v6, 64, v0
	v_sub_u32_e64 v6, s2, v6 clamp
	v_cmp_lt_u32_e32 vcc, v8, v6
	s_and_saveexec_b64 s[0:1], vcc
	s_cbranch_execz .LBB2_41
; %bb.40:
	s_waitcnt lgkmcnt(0)
	v_add_f64 v[1:2], v[1:2], v[3:4]
.LBB2_41:
	s_or_b64 exec, exec, s[0:1]
	v_cmp_gt_u32_e32 vcc, 62, v7
	s_waitcnt lgkmcnt(1)
	v_cndmask_b32_e64 v3, 0, 2, vcc
	s_waitcnt lgkmcnt(0)
	v_add_lshl_u32 v4, v3, v5, 2
	ds_bpermute_b32 v3, v4, v1
	ds_bpermute_b32 v4, v4, v2
	v_add_u32_e32 v8, 2, v5
	v_cmp_lt_u32_e32 vcc, v8, v6
	s_and_saveexec_b64 s[0:1], vcc
	s_cbranch_execz .LBB2_43
; %bb.42:
	s_waitcnt lgkmcnt(0)
	v_add_f64 v[1:2], v[1:2], v[3:4]
.LBB2_43:
	s_or_b64 exec, exec, s[0:1]
	v_cmp_gt_u32_e32 vcc, 60, v7
	s_waitcnt lgkmcnt(1)
	v_cndmask_b32_e64 v3, 0, 4, vcc
	s_waitcnt lgkmcnt(0)
	v_add_lshl_u32 v4, v3, v5, 2
	ds_bpermute_b32 v3, v4, v1
	ds_bpermute_b32 v4, v4, v2
	v_add_u32_e32 v8, 4, v5
	;; [unrolled: 16-line block ×4, first 2 shown]
	v_cmp_lt_u32_e32 vcc, v7, v6
	s_and_saveexec_b64 s[0:1], vcc
	s_cbranch_execz .LBB2_49
; %bb.48:
	s_waitcnt lgkmcnt(0)
	v_add_f64 v[1:2], v[1:2], v[3:4]
.LBB2_49:
	s_or_b64 exec, exec, s[0:1]
	v_lshlrev_b32_e32 v7, 2, v5
	s_waitcnt lgkmcnt(0)
	v_or_b32_e32 v4, 0x80, v7
	ds_bpermute_b32 v3, v4, v1
	ds_bpermute_b32 v4, v4, v2
	v_add_u32_e32 v8, 32, v5
	v_cmp_lt_u32_e32 vcc, v8, v6
	s_waitcnt lgkmcnt(0)
	v_add_f64 v[3:4], v[1:2], v[3:4]
	v_cndmask_b32_e32 v4, v2, v4, vcc
	v_cndmask_b32_e32 v3, v1, v3, vcc
	v_cmp_eq_u32_e32 vcc, 0, v5
	s_and_saveexec_b64 s[0:1], vcc
; %bb.50:
	v_lshrrev_b32_e32 v1, 3, v0
	v_and_b32_e32 v1, 8, v1
	ds_write_b64 v1, v[3:4] offset:16
; %bb.51:
	s_or_b64 exec, exec, s[0:1]
	v_cmp_gt_u32_e32 vcc, 2, v0
	s_waitcnt lgkmcnt(0)
	s_barrier
	s_and_saveexec_b64 s[0:1], vcc
	s_cbranch_execz .LBB2_53
; %bb.52:
	v_lshlrev_b32_e32 v1, 3, v5
	ds_read_b64 v[1:2], v1 offset:16
	v_or_b32_e32 v4, 4, v7
	s_add_i32 s2, s2, 63
	v_and_b32_e32 v5, 1, v5
	s_lshr_b32 s2, s2, 6
	s_waitcnt lgkmcnt(0)
	ds_bpermute_b32 v3, v4, v1
	ds_bpermute_b32 v4, v4, v2
	v_add_u32_e32 v5, 1, v5
	v_cmp_gt_u32_e32 vcc, s2, v5
	s_waitcnt lgkmcnt(0)
	v_add_f64 v[3:4], v[1:2], v[3:4]
	v_cndmask_b32_e32 v4, v2, v4, vcc
	v_cndmask_b32_e32 v3, v1, v3, vcc
.LBB2_53:
	s_or_b64 exec, exec, s[0:1]
.LBB2_54:
	v_cmp_eq_u32_e32 vcc, 0, v0
	s_and_saveexec_b64 s[0:1], vcc
	s_cbranch_execnz .LBB2_56
; %bb.55:
	s_endpgm
.LBB2_56:
	v_add_f64 v[0:1], s[42:43], v[3:4]
	s_lshl_b64 s[0:1], s[6:7], 3
	s_add_u32 s0, s40, s0
	s_addc_u32 s1, s41, s1
	s_cmp_eq_u64 s[38:39], 0
	v_mov_b32_e32 v3, s43
	s_cselect_b64 vcc, -1, 0
	v_mov_b32_e32 v2, 0
	v_cndmask_b32_e32 v1, v1, v3, vcc
	v_mov_b32_e32 v3, s42
	v_cndmask_b32_e32 v0, v0, v3, vcc
	global_store_dwordx2 v2, v[0:1], s[0:1]
	s_endpgm
	.section	.rodata,"a",@progbits
	.p2align	6, 0x0
	.amdhsa_kernel _ZN7rocprim6detail19block_reduce_kernelILb1ELb1ELj4ENS0_21wrapped_reduce_configINS_14default_configEdEEdPdS5_dNS_4plusIdEEEEvT4_mT5_T6_T7_
		.amdhsa_group_segment_fixed_size 32
		.amdhsa_private_segment_fixed_size 0
		.amdhsa_kernarg_size 36
		.amdhsa_user_sgpr_count 6
		.amdhsa_user_sgpr_private_segment_buffer 1
		.amdhsa_user_sgpr_dispatch_ptr 0
		.amdhsa_user_sgpr_queue_ptr 0
		.amdhsa_user_sgpr_kernarg_segment_ptr 1
		.amdhsa_user_sgpr_dispatch_id 0
		.amdhsa_user_sgpr_flat_scratch_init 0
		.amdhsa_user_sgpr_private_segment_size 0
		.amdhsa_uses_dynamic_stack 0
		.amdhsa_system_sgpr_private_segment_wavefront_offset 0
		.amdhsa_system_sgpr_workgroup_id_x 1
		.amdhsa_system_sgpr_workgroup_id_y 0
		.amdhsa_system_sgpr_workgroup_id_z 0
		.amdhsa_system_sgpr_workgroup_info 0
		.amdhsa_system_vgpr_workitem_id 0
		.amdhsa_next_free_vgpr 36
		.amdhsa_next_free_sgpr 44
		.amdhsa_reserve_vcc 1
		.amdhsa_reserve_flat_scratch 0
		.amdhsa_float_round_mode_32 0
		.amdhsa_float_round_mode_16_64 0
		.amdhsa_float_denorm_mode_32 3
		.amdhsa_float_denorm_mode_16_64 3
		.amdhsa_dx10_clamp 1
		.amdhsa_ieee_mode 1
		.amdhsa_fp16_overflow 0
		.amdhsa_exception_fp_ieee_invalid_op 0
		.amdhsa_exception_fp_denorm_src 0
		.amdhsa_exception_fp_ieee_div_zero 0
		.amdhsa_exception_fp_ieee_overflow 0
		.amdhsa_exception_fp_ieee_underflow 0
		.amdhsa_exception_fp_ieee_inexact 0
		.amdhsa_exception_int_div_zero 0
	.end_amdhsa_kernel
	.section	.text._ZN7rocprim6detail19block_reduce_kernelILb1ELb1ELj4ENS0_21wrapped_reduce_configINS_14default_configEdEEdPdS5_dNS_4plusIdEEEEvT4_mT5_T6_T7_,"axG",@progbits,_ZN7rocprim6detail19block_reduce_kernelILb1ELb1ELj4ENS0_21wrapped_reduce_configINS_14default_configEdEEdPdS5_dNS_4plusIdEEEEvT4_mT5_T6_T7_,comdat
.Lfunc_end2:
	.size	_ZN7rocprim6detail19block_reduce_kernelILb1ELb1ELj4ENS0_21wrapped_reduce_configINS_14default_configEdEEdPdS5_dNS_4plusIdEEEEvT4_mT5_T6_T7_, .Lfunc_end2-_ZN7rocprim6detail19block_reduce_kernelILb1ELb1ELj4ENS0_21wrapped_reduce_configINS_14default_configEdEEdPdS5_dNS_4plusIdEEEEvT4_mT5_T6_T7_
                                        ; -- End function
	.set _ZN7rocprim6detail19block_reduce_kernelILb1ELb1ELj4ENS0_21wrapped_reduce_configINS_14default_configEdEEdPdS5_dNS_4plusIdEEEEvT4_mT5_T6_T7_.num_vgpr, 36
	.set _ZN7rocprim6detail19block_reduce_kernelILb1ELb1ELj4ENS0_21wrapped_reduce_configINS_14default_configEdEEdPdS5_dNS_4plusIdEEEEvT4_mT5_T6_T7_.num_agpr, 0
	.set _ZN7rocprim6detail19block_reduce_kernelILb1ELb1ELj4ENS0_21wrapped_reduce_configINS_14default_configEdEEdPdS5_dNS_4plusIdEEEEvT4_mT5_T6_T7_.numbered_sgpr, 44
	.set _ZN7rocprim6detail19block_reduce_kernelILb1ELb1ELj4ENS0_21wrapped_reduce_configINS_14default_configEdEEdPdS5_dNS_4plusIdEEEEvT4_mT5_T6_T7_.num_named_barrier, 0
	.set _ZN7rocprim6detail19block_reduce_kernelILb1ELb1ELj4ENS0_21wrapped_reduce_configINS_14default_configEdEEdPdS5_dNS_4plusIdEEEEvT4_mT5_T6_T7_.private_seg_size, 0
	.set _ZN7rocprim6detail19block_reduce_kernelILb1ELb1ELj4ENS0_21wrapped_reduce_configINS_14default_configEdEEdPdS5_dNS_4plusIdEEEEvT4_mT5_T6_T7_.uses_vcc, 1
	.set _ZN7rocprim6detail19block_reduce_kernelILb1ELb1ELj4ENS0_21wrapped_reduce_configINS_14default_configEdEEdPdS5_dNS_4plusIdEEEEvT4_mT5_T6_T7_.uses_flat_scratch, 0
	.set _ZN7rocprim6detail19block_reduce_kernelILb1ELb1ELj4ENS0_21wrapped_reduce_configINS_14default_configEdEEdPdS5_dNS_4plusIdEEEEvT4_mT5_T6_T7_.has_dyn_sized_stack, 0
	.set _ZN7rocprim6detail19block_reduce_kernelILb1ELb1ELj4ENS0_21wrapped_reduce_configINS_14default_configEdEEdPdS5_dNS_4plusIdEEEEvT4_mT5_T6_T7_.has_recursion, 0
	.set _ZN7rocprim6detail19block_reduce_kernelILb1ELb1ELj4ENS0_21wrapped_reduce_configINS_14default_configEdEEdPdS5_dNS_4plusIdEEEEvT4_mT5_T6_T7_.has_indirect_call, 0
	.section	.AMDGPU.csdata,"",@progbits
; Kernel info:
; codeLenInByte = 2476
; TotalNumSgprs: 48
; NumVgprs: 36
; ScratchSize: 0
; MemoryBound: 0
; FloatMode: 240
; IeeeMode: 1
; LDSByteSize: 32 bytes/workgroup (compile time only)
; SGPRBlocks: 5
; VGPRBlocks: 8
; NumSGPRsForWavesPerEU: 48
; NumVGPRsForWavesPerEU: 36
; Occupancy: 7
; WaveLimiterHint : 1
; COMPUTE_PGM_RSRC2:SCRATCH_EN: 0
; COMPUTE_PGM_RSRC2:USER_SGPR: 6
; COMPUTE_PGM_RSRC2:TRAP_HANDLER: 0
; COMPUTE_PGM_RSRC2:TGID_X_EN: 1
; COMPUTE_PGM_RSRC2:TGID_Y_EN: 0
; COMPUTE_PGM_RSRC2:TGID_Z_EN: 0
; COMPUTE_PGM_RSRC2:TIDIG_COMP_CNT: 0
	.section	.text._ZN7rocprim6detail19block_reduce_kernelILb1ELb1ELj8ENS0_21wrapped_reduce_configINS_14default_configEdEEdPdS5_dNS_4plusIdEEEEvT4_mT5_T6_T7_,"axG",@progbits,_ZN7rocprim6detail19block_reduce_kernelILb1ELb1ELj8ENS0_21wrapped_reduce_configINS_14default_configEdEEdPdS5_dNS_4plusIdEEEEvT4_mT5_T6_T7_,comdat
	.protected	_ZN7rocprim6detail19block_reduce_kernelILb1ELb1ELj8ENS0_21wrapped_reduce_configINS_14default_configEdEEdPdS5_dNS_4plusIdEEEEvT4_mT5_T6_T7_ ; -- Begin function _ZN7rocprim6detail19block_reduce_kernelILb1ELb1ELj8ENS0_21wrapped_reduce_configINS_14default_configEdEEdPdS5_dNS_4plusIdEEEEvT4_mT5_T6_T7_
	.globl	_ZN7rocprim6detail19block_reduce_kernelILb1ELb1ELj8ENS0_21wrapped_reduce_configINS_14default_configEdEEdPdS5_dNS_4plusIdEEEEvT4_mT5_T6_T7_
	.p2align	8
	.type	_ZN7rocprim6detail19block_reduce_kernelILb1ELb1ELj8ENS0_21wrapped_reduce_configINS_14default_configEdEEdPdS5_dNS_4plusIdEEEEvT4_mT5_T6_T7_,@function
_ZN7rocprim6detail19block_reduce_kernelILb1ELb1ELj8ENS0_21wrapped_reduce_configINS_14default_configEdEEdPdS5_dNS_4plusIdEEEEvT4_mT5_T6_T7_: ; @_ZN7rocprim6detail19block_reduce_kernelILb1ELb1ELj8ENS0_21wrapped_reduce_configINS_14default_configEdEEdPdS5_dNS_4plusIdEEEEvT4_mT5_T6_T7_
; %bb.0:
	s_load_dwordx8 s[64:71], s[4:5], 0x0
	s_lshl_b32 s0, s6, 12
	s_mov_b32 s1, 0
	s_lshl_b64 s[4:5], s[0:1], 3
	s_mov_b32 s7, s1
	s_waitcnt lgkmcnt(0)
	s_lshr_b64 s[2:3], s[66:67], 12
	s_add_u32 s1, s64, s4
	s_addc_u32 s4, s65, s5
	v_lshlrev_b32_e32 v1, 3, v0
	v_mov_b32_e32 v2, s4
	v_add_co_u32_e32 v1, vcc, s1, v1
	s_cmp_lg_u64 s[2:3], s[6:7]
	v_addc_co_u32_e32 v2, vcc, 0, v2, vcc
	v_mbcnt_lo_u32_b32 v67, -1, 0
	s_cbranch_scc0 .LBB3_6
; %bb.1:
	global_load_dwordx2 v[3:4], v[1:2], off
	global_load_dwordx2 v[5:6], v[1:2], off offset:1024
	global_load_dwordx2 v[7:8], v[1:2], off offset:2048
	global_load_dwordx2 v[9:10], v[1:2], off offset:3072
	v_add_co_u32_e32 v11, vcc, 0x1000, v1
	v_addc_co_u32_e32 v12, vcc, 0, v2, vcc
	global_load_dwordx2 v[13:14], v[11:12], off
	global_load_dwordx2 v[15:16], v[11:12], off offset:1024
	global_load_dwordx2 v[17:18], v[11:12], off offset:2048
	global_load_dwordx2 v[19:20], v[11:12], off offset:3072
	v_add_co_u32_e32 v11, vcc, 0x2000, v1
	v_addc_co_u32_e32 v12, vcc, 0, v2, vcc
	global_load_dwordx2 v[21:22], v[11:12], off
	global_load_dwordx2 v[23:24], v[11:12], off offset:1024
	global_load_dwordx2 v[25:26], v[11:12], off offset:2048
	s_waitcnt vmcnt(9)
	v_add_f64 v[3:4], v[3:4], v[5:6]
	global_load_dwordx2 v[5:6], v[11:12], off offset:3072
	v_add_co_u32_e32 v11, vcc, 0x3000, v1
	v_addc_co_u32_e32 v12, vcc, 0, v2, vcc
	s_waitcnt vmcnt(9)
	v_add_f64 v[3:4], v[3:4], v[7:8]
	global_load_dwordx2 v[7:8], v[11:12], off
	s_waitcnt vmcnt(9)
	v_add_f64 v[3:4], v[3:4], v[9:10]
	global_load_dwordx2 v[9:10], v[11:12], off offset:1024
	s_waitcnt vmcnt(9)
	v_add_f64 v[3:4], v[3:4], v[13:14]
	global_load_dwordx2 v[13:14], v[11:12], off offset:2048
	s_waitcnt vmcnt(9)
	v_add_f64 v[3:4], v[3:4], v[15:16]
	v_add_co_u32_e32 v15, vcc, 0x4000, v1
	v_addc_co_u32_e32 v16, vcc, 0, v2, vcc
	s_waitcnt vmcnt(8)
	v_add_f64 v[3:4], v[3:4], v[17:18]
	global_load_dwordx2 v[17:18], v[15:16], off
	s_waitcnt vmcnt(8)
	v_add_f64 v[3:4], v[3:4], v[19:20]
	global_load_dwordx2 v[11:12], v[11:12], off offset:3072
	s_waitcnt vmcnt(8)
	v_add_f64 v[3:4], v[3:4], v[21:22]
	global_load_dwordx2 v[19:20], v[15:16], off offset:1024
	global_load_dwordx2 v[21:22], v[15:16], off offset:2048
	;; [unrolled: 1-line block ×3, first 2 shown]
	v_add_co_u32_e32 v15, vcc, 0x5000, v1
	v_addc_co_u32_e32 v16, vcc, 0, v2, vcc
	s_waitcnt vmcnt(10)
	v_add_f64 v[3:4], v[3:4], v[23:24]
	global_load_dwordx2 v[23:24], v[15:16], off
	s_waitcnt vmcnt(10)
	v_add_f64 v[3:4], v[3:4], v[25:26]
	s_waitcnt vmcnt(9)
	v_add_f64 v[3:4], v[3:4], v[5:6]
	global_load_dwordx2 v[5:6], v[15:16], off offset:1024
	s_waitcnt vmcnt(9)
	v_add_f64 v[3:4], v[3:4], v[7:8]
	global_load_dwordx2 v[7:8], v[15:16], off offset:2048
	;; [unrolled: 3-line block ×3, first 2 shown]
	v_add_co_u32_e32 v15, vcc, 0x6000, v1
	v_addc_co_u32_e32 v16, vcc, 0, v2, vcc
	s_waitcnt vmcnt(9)
	v_add_f64 v[3:4], v[3:4], v[13:14]
	global_load_dwordx2 v[13:14], v[15:16], off
	s_waitcnt vmcnt(8)
	v_add_f64 v[3:4], v[3:4], v[11:12]
	global_load_dwordx2 v[11:12], v[15:16], off offset:1024
	v_add_f64 v[3:4], v[3:4], v[17:18]
	global_load_dwordx2 v[17:18], v[15:16], off offset:2048
	s_waitcnt vmcnt(9)
	v_add_f64 v[3:4], v[3:4], v[19:20]
	v_add_co_u32_e32 v19, vcc, 0x7000, v1
	v_addc_co_u32_e32 v20, vcc, 0, v2, vcc
	global_load_dwordx2 v[25:26], v[19:20], off offset:1024
	s_waitcnt vmcnt(9)
	v_add_f64 v[3:4], v[3:4], v[21:22]
	global_load_dwordx2 v[21:22], v[19:20], off
	s_waitcnt vmcnt(9)
	v_add_f64 v[3:4], v[3:4], v[27:28]
	global_load_dwordx2 v[15:16], v[15:16], off offset:3072
	s_waitcnt vmcnt(9)
	v_add_f64 v[3:4], v[3:4], v[23:24]
	global_load_dwordx2 v[23:24], v[19:20], off offset:2048
	global_load_dwordx2 v[27:28], v[19:20], off offset:3072
	s_waitcnt vmcnt(10)
	v_add_f64 v[3:4], v[3:4], v[5:6]
	s_waitcnt vmcnt(9)
	v_add_f64 v[3:4], v[3:4], v[7:8]
	;; [unrolled: 2-line block ×7, first 2 shown]
	v_add_f64 v[3:4], v[3:4], v[21:22]
	v_add_f64 v[3:4], v[3:4], v[25:26]
	s_waitcnt vmcnt(1)
	v_add_f64 v[3:4], v[3:4], v[23:24]
	s_waitcnt vmcnt(0)
	v_add_f64 v[3:4], v[3:4], v[27:28]
	s_nop 1
	v_mov_b32_dpp v5, v3 quad_perm:[1,0,3,2] row_mask:0xf bank_mask:0xf
	v_mov_b32_dpp v6, v4 quad_perm:[1,0,3,2] row_mask:0xf bank_mask:0xf
	v_add_f64 v[3:4], v[3:4], v[5:6]
	s_nop 1
	v_mov_b32_dpp v5, v3 quad_perm:[2,3,0,1] row_mask:0xf bank_mask:0xf
	v_mov_b32_dpp v6, v4 quad_perm:[2,3,0,1] row_mask:0xf bank_mask:0xf
	v_add_f64 v[3:4], v[3:4], v[5:6]
	s_nop 1
	v_mov_b32_dpp v5, v3 row_ror:4 row_mask:0xf bank_mask:0xf
	v_mov_b32_dpp v6, v4 row_ror:4 row_mask:0xf bank_mask:0xf
	v_add_f64 v[3:4], v[3:4], v[5:6]
	s_nop 1
	v_mov_b32_dpp v5, v3 row_ror:8 row_mask:0xf bank_mask:0xf
	v_mov_b32_dpp v6, v4 row_ror:8 row_mask:0xf bank_mask:0xf
	v_add_f64 v[3:4], v[3:4], v[5:6]
	s_nop 1
	v_mov_b32_dpp v5, v3 row_bcast:15 row_mask:0xf bank_mask:0xf
	v_mov_b32_dpp v6, v4 row_bcast:15 row_mask:0xf bank_mask:0xf
	v_add_f64 v[3:4], v[3:4], v[5:6]
	s_nop 1
	v_mov_b32_dpp v5, v3 row_bcast:31 row_mask:0xf bank_mask:0xf
	v_mov_b32_dpp v6, v4 row_bcast:31 row_mask:0xf bank_mask:0xf
	v_add_f64 v[3:4], v[3:4], v[5:6]
	v_mbcnt_hi_u32_b32 v6, -1, v67
	v_lshlrev_b32_e32 v5, 2, v6
	v_or_b32_e32 v7, 0xfc, v5
	v_cmp_eq_u32_e32 vcc, 0, v6
	ds_bpermute_b32 v3, v7, v3
	ds_bpermute_b32 v4, v7, v4
	s_and_saveexec_b64 s[2:3], vcc
	s_cbranch_execz .LBB3_3
; %bb.2:
	v_lshrrev_b32_e32 v7, 3, v0
	v_and_b32_e32 v7, 8, v7
	s_waitcnt lgkmcnt(0)
	ds_write_b64 v7, v[3:4]
.LBB3_3:
	s_or_b64 exec, exec, s[2:3]
	v_cmp_gt_u32_e32 vcc, 64, v0
	s_waitcnt lgkmcnt(0)
	s_barrier
	s_and_saveexec_b64 s[2:3], vcc
	s_cbranch_execz .LBB3_5
; %bb.4:
	v_and_b32_e32 v3, 1, v6
	v_lshlrev_b32_e32 v3, 3, v3
	ds_read_b64 v[3:4], v3
	v_or_b32_e32 v6, 4, v5
	s_waitcnt lgkmcnt(0)
	ds_bpermute_b32 v5, v6, v3
	ds_bpermute_b32 v6, v6, v4
	s_waitcnt lgkmcnt(0)
	v_add_f64 v[3:4], v[3:4], v[5:6]
.LBB3_5:
	s_or_b64 exec, exec, s[2:3]
	s_branch .LBB3_86
.LBB3_6:
                                        ; implicit-def: $vgpr3_vgpr4
	s_cbranch_execz .LBB3_86
; %bb.7:
	s_sub_i32 s33, s66, s0
	v_cmp_gt_u32_e32 vcc, s33, v0
                                        ; implicit-def: $vgpr3_vgpr4
	s_and_saveexec_b64 s[0:1], vcc
	s_cbranch_execz .LBB3_9
; %bb.8:
	global_load_dwordx2 v[3:4], v[1:2], off
.LBB3_9:
	s_or_b64 exec, exec, s[0:1]
	v_or_b32_e32 v5, 0x80, v0
	v_cmp_gt_u32_e64 s[0:1], s33, v5
                                        ; implicit-def: $vgpr5_vgpr6
	s_and_saveexec_b64 s[2:3], s[0:1]
	s_cbranch_execz .LBB3_11
; %bb.10:
	global_load_dwordx2 v[5:6], v[1:2], off offset:1024
.LBB3_11:
	s_or_b64 exec, exec, s[2:3]
	v_or_b32_e32 v7, 0x100, v0
	v_cmp_gt_u32_e64 s[2:3], s33, v7
                                        ; implicit-def: $vgpr7_vgpr8
	s_and_saveexec_b64 s[4:5], s[2:3]
	s_cbranch_execz .LBB3_13
; %bb.12:
	global_load_dwordx2 v[7:8], v[1:2], off offset:2048
.LBB3_13:
	s_or_b64 exec, exec, s[4:5]
	v_or_b32_e32 v9, 0x180, v0
	v_cmp_gt_u32_e64 s[4:5], s33, v9
                                        ; implicit-def: $vgpr9_vgpr10
	s_and_saveexec_b64 s[8:9], s[4:5]
	s_cbranch_execz .LBB3_15
; %bb.14:
	global_load_dwordx2 v[9:10], v[1:2], off offset:3072
.LBB3_15:
	s_or_b64 exec, exec, s[8:9]
	v_or_b32_e32 v11, 0x200, v0
	v_cmp_gt_u32_e64 s[8:9], s33, v11
                                        ; implicit-def: $vgpr11_vgpr12
	s_and_saveexec_b64 s[10:11], s[8:9]
	s_cbranch_execz .LBB3_17
; %bb.16:
	v_add_co_u32_e32 v11, vcc, 0x1000, v1
	v_addc_co_u32_e32 v12, vcc, 0, v2, vcc
	global_load_dwordx2 v[11:12], v[11:12], off
.LBB3_17:
	s_or_b64 exec, exec, s[10:11]
	v_or_b32_e32 v13, 0x280, v0
	v_cmp_gt_u32_e64 s[10:11], s33, v13
                                        ; implicit-def: $vgpr13_vgpr14
	s_and_saveexec_b64 s[12:13], s[10:11]
	s_cbranch_execz .LBB3_19
; %bb.18:
	v_add_co_u32_e32 v13, vcc, 0x1000, v1
	v_addc_co_u32_e32 v14, vcc, 0, v2, vcc
	global_load_dwordx2 v[13:14], v[13:14], off offset:1024
.LBB3_19:
	s_or_b64 exec, exec, s[12:13]
	v_or_b32_e32 v15, 0x300, v0
	v_cmp_gt_u32_e64 s[12:13], s33, v15
                                        ; implicit-def: $vgpr15_vgpr16
	s_and_saveexec_b64 s[14:15], s[12:13]
	s_cbranch_execz .LBB3_21
; %bb.20:
	v_add_co_u32_e32 v15, vcc, 0x1000, v1
	v_addc_co_u32_e32 v16, vcc, 0, v2, vcc
	global_load_dwordx2 v[15:16], v[15:16], off offset:2048
.LBB3_21:
	s_or_b64 exec, exec, s[14:15]
	v_or_b32_e32 v17, 0x380, v0
	v_cmp_gt_u32_e64 s[14:15], s33, v17
                                        ; implicit-def: $vgpr17_vgpr18
	s_and_saveexec_b64 s[16:17], s[14:15]
	s_cbranch_execz .LBB3_23
; %bb.22:
	v_add_co_u32_e32 v17, vcc, 0x1000, v1
	v_addc_co_u32_e32 v18, vcc, 0, v2, vcc
	global_load_dwordx2 v[17:18], v[17:18], off offset:3072
.LBB3_23:
	s_or_b64 exec, exec, s[16:17]
	v_or_b32_e32 v19, 0x400, v0
	v_cmp_gt_u32_e64 s[16:17], s33, v19
                                        ; implicit-def: $vgpr19_vgpr20
	s_and_saveexec_b64 s[18:19], s[16:17]
	s_cbranch_execz .LBB3_25
; %bb.24:
	v_add_co_u32_e32 v19, vcc, 0x2000, v1
	v_addc_co_u32_e32 v20, vcc, 0, v2, vcc
	global_load_dwordx2 v[19:20], v[19:20], off
.LBB3_25:
	s_or_b64 exec, exec, s[18:19]
	v_or_b32_e32 v21, 0x480, v0
	v_cmp_gt_u32_e64 s[18:19], s33, v21
                                        ; implicit-def: $vgpr21_vgpr22
	s_and_saveexec_b64 s[20:21], s[18:19]
	s_cbranch_execz .LBB3_27
; %bb.26:
	v_add_co_u32_e32 v21, vcc, 0x2000, v1
	v_addc_co_u32_e32 v22, vcc, 0, v2, vcc
	global_load_dwordx2 v[21:22], v[21:22], off offset:1024
.LBB3_27:
	s_or_b64 exec, exec, s[20:21]
	v_or_b32_e32 v23, 0x500, v0
	v_cmp_gt_u32_e64 s[20:21], s33, v23
                                        ; implicit-def: $vgpr23_vgpr24
	s_and_saveexec_b64 s[22:23], s[20:21]
	s_cbranch_execz .LBB3_29
; %bb.28:
	v_add_co_u32_e32 v23, vcc, 0x2000, v1
	v_addc_co_u32_e32 v24, vcc, 0, v2, vcc
	global_load_dwordx2 v[23:24], v[23:24], off offset:2048
.LBB3_29:
	s_or_b64 exec, exec, s[22:23]
	v_or_b32_e32 v25, 0x580, v0
	v_cmp_gt_u32_e64 s[22:23], s33, v25
                                        ; implicit-def: $vgpr25_vgpr26
	s_and_saveexec_b64 s[24:25], s[22:23]
	s_cbranch_execz .LBB3_31
; %bb.30:
	v_add_co_u32_e32 v25, vcc, 0x2000, v1
	v_addc_co_u32_e32 v26, vcc, 0, v2, vcc
	global_load_dwordx2 v[25:26], v[25:26], off offset:3072
.LBB3_31:
	s_or_b64 exec, exec, s[24:25]
	v_or_b32_e32 v27, 0x600, v0
	v_cmp_gt_u32_e64 s[24:25], s33, v27
                                        ; implicit-def: $vgpr27_vgpr28
	s_and_saveexec_b64 s[26:27], s[24:25]
	s_cbranch_execz .LBB3_33
; %bb.32:
	v_add_co_u32_e32 v27, vcc, 0x3000, v1
	v_addc_co_u32_e32 v28, vcc, 0, v2, vcc
	global_load_dwordx2 v[27:28], v[27:28], off
.LBB3_33:
	s_or_b64 exec, exec, s[26:27]
	v_or_b32_e32 v29, 0x680, v0
	v_cmp_gt_u32_e64 s[26:27], s33, v29
                                        ; implicit-def: $vgpr29_vgpr30
	s_and_saveexec_b64 s[28:29], s[26:27]
	s_cbranch_execz .LBB3_35
; %bb.34:
	v_add_co_u32_e32 v29, vcc, 0x3000, v1
	v_addc_co_u32_e32 v30, vcc, 0, v2, vcc
	global_load_dwordx2 v[29:30], v[29:30], off offset:1024
.LBB3_35:
	s_or_b64 exec, exec, s[28:29]
	v_or_b32_e32 v31, 0x700, v0
	v_cmp_gt_u32_e64 s[28:29], s33, v31
                                        ; implicit-def: $vgpr31_vgpr32
	s_and_saveexec_b64 s[30:31], s[28:29]
	s_cbranch_execz .LBB3_37
; %bb.36:
	v_add_co_u32_e32 v31, vcc, 0x3000, v1
	v_addc_co_u32_e32 v32, vcc, 0, v2, vcc
	global_load_dwordx2 v[31:32], v[31:32], off offset:2048
.LBB3_37:
	s_or_b64 exec, exec, s[30:31]
	v_or_b32_e32 v33, 0x780, v0
	v_cmp_gt_u32_e64 s[30:31], s33, v33
                                        ; implicit-def: $vgpr33_vgpr34
	s_and_saveexec_b64 s[34:35], s[30:31]
	s_cbranch_execz .LBB3_39
; %bb.38:
	v_add_co_u32_e32 v33, vcc, 0x3000, v1
	v_addc_co_u32_e32 v34, vcc, 0, v2, vcc
	global_load_dwordx2 v[33:34], v[33:34], off offset:3072
.LBB3_39:
	s_or_b64 exec, exec, s[34:35]
	v_or_b32_e32 v35, 0x800, v0
	v_cmp_gt_u32_e64 s[34:35], s33, v35
                                        ; implicit-def: $vgpr35_vgpr36
	s_and_saveexec_b64 s[36:37], s[34:35]
	s_cbranch_execz .LBB3_41
; %bb.40:
	v_add_co_u32_e32 v35, vcc, 0x4000, v1
	v_addc_co_u32_e32 v36, vcc, 0, v2, vcc
	global_load_dwordx2 v[35:36], v[35:36], off
.LBB3_41:
	s_or_b64 exec, exec, s[36:37]
	v_or_b32_e32 v37, 0x880, v0
	v_cmp_gt_u32_e64 s[36:37], s33, v37
                                        ; implicit-def: $vgpr37_vgpr38
	s_and_saveexec_b64 s[38:39], s[36:37]
	s_cbranch_execz .LBB3_43
; %bb.42:
	v_add_co_u32_e32 v37, vcc, 0x4000, v1
	v_addc_co_u32_e32 v38, vcc, 0, v2, vcc
	global_load_dwordx2 v[37:38], v[37:38], off offset:1024
.LBB3_43:
	s_or_b64 exec, exec, s[38:39]
	v_or_b32_e32 v39, 0x900, v0
	v_cmp_gt_u32_e64 s[38:39], s33, v39
                                        ; implicit-def: $vgpr39_vgpr40
	s_and_saveexec_b64 s[40:41], s[38:39]
	s_cbranch_execz .LBB3_45
; %bb.44:
	v_add_co_u32_e32 v39, vcc, 0x4000, v1
	v_addc_co_u32_e32 v40, vcc, 0, v2, vcc
	global_load_dwordx2 v[39:40], v[39:40], off offset:2048
.LBB3_45:
	s_or_b64 exec, exec, s[40:41]
	v_or_b32_e32 v41, 0x980, v0
	v_cmp_gt_u32_e64 s[40:41], s33, v41
                                        ; implicit-def: $vgpr41_vgpr42
	s_and_saveexec_b64 s[42:43], s[40:41]
	s_cbranch_execz .LBB3_47
; %bb.46:
	v_add_co_u32_e32 v41, vcc, 0x4000, v1
	v_addc_co_u32_e32 v42, vcc, 0, v2, vcc
	global_load_dwordx2 v[41:42], v[41:42], off offset:3072
.LBB3_47:
	s_or_b64 exec, exec, s[42:43]
	v_or_b32_e32 v43, 0xa00, v0
	v_cmp_gt_u32_e64 s[42:43], s33, v43
                                        ; implicit-def: $vgpr43_vgpr44
	s_and_saveexec_b64 s[44:45], s[42:43]
	s_cbranch_execz .LBB3_49
; %bb.48:
	v_add_co_u32_e32 v43, vcc, 0x5000, v1
	v_addc_co_u32_e32 v44, vcc, 0, v2, vcc
	global_load_dwordx2 v[43:44], v[43:44], off
.LBB3_49:
	s_or_b64 exec, exec, s[44:45]
	v_or_b32_e32 v45, 0xa80, v0
	v_cmp_gt_u32_e64 s[44:45], s33, v45
                                        ; implicit-def: $vgpr45_vgpr46
	s_and_saveexec_b64 s[46:47], s[44:45]
	s_cbranch_execz .LBB3_51
; %bb.50:
	v_add_co_u32_e32 v45, vcc, 0x5000, v1
	v_addc_co_u32_e32 v46, vcc, 0, v2, vcc
	global_load_dwordx2 v[45:46], v[45:46], off offset:1024
.LBB3_51:
	s_or_b64 exec, exec, s[46:47]
	v_or_b32_e32 v47, 0xb00, v0
	v_cmp_gt_u32_e64 s[46:47], s33, v47
                                        ; implicit-def: $vgpr47_vgpr48
	s_and_saveexec_b64 s[48:49], s[46:47]
	s_cbranch_execz .LBB3_53
; %bb.52:
	v_add_co_u32_e32 v47, vcc, 0x5000, v1
	v_addc_co_u32_e32 v48, vcc, 0, v2, vcc
	global_load_dwordx2 v[47:48], v[47:48], off offset:2048
.LBB3_53:
	s_or_b64 exec, exec, s[48:49]
	v_or_b32_e32 v49, 0xb80, v0
	v_cmp_gt_u32_e64 s[48:49], s33, v49
                                        ; implicit-def: $vgpr49_vgpr50
	s_and_saveexec_b64 s[50:51], s[48:49]
	s_cbranch_execz .LBB3_55
; %bb.54:
	v_add_co_u32_e32 v49, vcc, 0x5000, v1
	v_addc_co_u32_e32 v50, vcc, 0, v2, vcc
	global_load_dwordx2 v[49:50], v[49:50], off offset:3072
.LBB3_55:
	s_or_b64 exec, exec, s[50:51]
	v_or_b32_e32 v51, 0xc00, v0
	v_cmp_gt_u32_e64 s[50:51], s33, v51
                                        ; implicit-def: $vgpr51_vgpr52
	s_and_saveexec_b64 s[52:53], s[50:51]
	s_cbranch_execz .LBB3_57
; %bb.56:
	v_add_co_u32_e32 v51, vcc, 0x6000, v1
	v_addc_co_u32_e32 v52, vcc, 0, v2, vcc
	global_load_dwordx2 v[51:52], v[51:52], off
.LBB3_57:
	s_or_b64 exec, exec, s[52:53]
	v_or_b32_e32 v53, 0xc80, v0
	v_cmp_gt_u32_e64 s[52:53], s33, v53
                                        ; implicit-def: $vgpr53_vgpr54
	s_and_saveexec_b64 s[54:55], s[52:53]
	s_cbranch_execz .LBB3_59
; %bb.58:
	v_add_co_u32_e32 v53, vcc, 0x6000, v1
	v_addc_co_u32_e32 v54, vcc, 0, v2, vcc
	global_load_dwordx2 v[53:54], v[53:54], off offset:1024
.LBB3_59:
	s_or_b64 exec, exec, s[54:55]
	v_or_b32_e32 v55, 0xd00, v0
	v_cmp_gt_u32_e64 s[54:55], s33, v55
                                        ; implicit-def: $vgpr55_vgpr56
	s_and_saveexec_b64 s[56:57], s[54:55]
	s_cbranch_execz .LBB3_61
; %bb.60:
	v_add_co_u32_e32 v55, vcc, 0x6000, v1
	v_addc_co_u32_e32 v56, vcc, 0, v2, vcc
	global_load_dwordx2 v[55:56], v[55:56], off offset:2048
.LBB3_61:
	s_or_b64 exec, exec, s[56:57]
	v_or_b32_e32 v57, 0xd80, v0
	v_cmp_gt_u32_e64 s[56:57], s33, v57
                                        ; implicit-def: $vgpr57_vgpr58
	s_and_saveexec_b64 s[58:59], s[56:57]
	s_cbranch_execz .LBB3_63
; %bb.62:
	v_add_co_u32_e32 v57, vcc, 0x6000, v1
	v_addc_co_u32_e32 v58, vcc, 0, v2, vcc
	global_load_dwordx2 v[57:58], v[57:58], off offset:3072
.LBB3_63:
	s_or_b64 exec, exec, s[58:59]
	v_or_b32_e32 v59, 0xe00, v0
	v_cmp_gt_u32_e64 s[58:59], s33, v59
                                        ; implicit-def: $vgpr59_vgpr60
	s_and_saveexec_b64 s[60:61], s[58:59]
	s_cbranch_execz .LBB3_65
; %bb.64:
	v_add_co_u32_e32 v59, vcc, 0x7000, v1
	v_addc_co_u32_e32 v60, vcc, 0, v2, vcc
	global_load_dwordx2 v[59:60], v[59:60], off
.LBB3_65:
	s_or_b64 exec, exec, s[60:61]
	v_or_b32_e32 v61, 0xe80, v0
	v_cmp_gt_u32_e64 s[60:61], s33, v61
                                        ; implicit-def: $vgpr61_vgpr62
	s_and_saveexec_b64 s[62:63], s[60:61]
	s_cbranch_execz .LBB3_67
; %bb.66:
	v_add_co_u32_e32 v61, vcc, 0x7000, v1
	v_addc_co_u32_e32 v62, vcc, 0, v2, vcc
	global_load_dwordx2 v[61:62], v[61:62], off offset:1024
.LBB3_67:
	s_or_b64 exec, exec, s[62:63]
	v_or_b32_e32 v63, 0xf00, v0
	v_cmp_gt_u32_e64 s[62:63], s33, v63
                                        ; implicit-def: $vgpr63_vgpr64
	s_and_saveexec_b64 s[64:65], s[62:63]
	s_cbranch_execz .LBB3_69
; %bb.68:
	v_add_co_u32_e32 v63, vcc, 0x7000, v1
	v_addc_co_u32_e32 v64, vcc, 0, v2, vcc
	global_load_dwordx2 v[63:64], v[63:64], off offset:2048
.LBB3_69:
	s_or_b64 exec, exec, s[64:65]
	v_or_b32_e32 v65, 0xf80, v0
	v_cmp_gt_u32_e64 s[64:65], s33, v65
                                        ; implicit-def: $vgpr65_vgpr66
	s_and_saveexec_b64 s[72:73], s[64:65]
	s_cbranch_execz .LBB3_71
; %bb.70:
	v_add_co_u32_e32 v1, vcc, 0x7000, v1
	v_addc_co_u32_e32 v2, vcc, 0, v2, vcc
	global_load_dwordx2 v[65:66], v[1:2], off offset:3072
.LBB3_71:
	s_or_b64 exec, exec, s[72:73]
	s_waitcnt vmcnt(0)
	v_add_f64 v[1:2], v[3:4], v[5:6]
	v_mbcnt_hi_u32_b32 v5, -1, v67
	v_cndmask_b32_e64 v2, v4, v2, s[0:1]
	v_cndmask_b32_e64 v1, v3, v1, s[0:1]
	v_add_f64 v[3:4], v[1:2], v[7:8]
	v_and_b32_e32 v7, 63, v5
	v_cmp_ne_u32_e32 vcc, 63, v7
	v_addc_co_u32_e32 v6, vcc, 0, v5, vcc
	v_lshlrev_b32_e32 v6, 2, v6
	v_add_u32_e32 v8, 1, v5
	v_cndmask_b32_e64 v2, v2, v4, s[2:3]
	v_cndmask_b32_e64 v1, v1, v3, s[2:3]
	v_add_f64 v[3:4], v[1:2], v[9:10]
	s_min_u32 s2, s33, 0x80
	v_cndmask_b32_e64 v2, v2, v4, s[4:5]
	v_cndmask_b32_e64 v1, v1, v3, s[4:5]
	v_add_f64 v[3:4], v[1:2], v[11:12]
	v_cndmask_b32_e64 v2, v2, v4, s[8:9]
	v_cndmask_b32_e64 v1, v1, v3, s[8:9]
	v_add_f64 v[3:4], v[1:2], v[13:14]
	;; [unrolled: 3-line block ×28, first 2 shown]
	v_cndmask_b32_e64 v2, v2, v4, s[64:65]
	v_cndmask_b32_e64 v1, v1, v3, s[64:65]
	ds_bpermute_b32 v3, v6, v1
	ds_bpermute_b32 v4, v6, v2
	v_and_b32_e32 v6, 64, v0
	v_sub_u32_e64 v6, s2, v6 clamp
	v_cmp_lt_u32_e32 vcc, v8, v6
	s_and_saveexec_b64 s[0:1], vcc
	s_cbranch_execz .LBB3_73
; %bb.72:
	s_waitcnt lgkmcnt(0)
	v_add_f64 v[1:2], v[1:2], v[3:4]
.LBB3_73:
	s_or_b64 exec, exec, s[0:1]
	v_cmp_gt_u32_e32 vcc, 62, v7
	s_waitcnt lgkmcnt(1)
	v_cndmask_b32_e64 v3, 0, 2, vcc
	s_waitcnt lgkmcnt(0)
	v_add_lshl_u32 v4, v3, v5, 2
	ds_bpermute_b32 v3, v4, v1
	ds_bpermute_b32 v4, v4, v2
	v_add_u32_e32 v8, 2, v5
	v_cmp_lt_u32_e32 vcc, v8, v6
	s_and_saveexec_b64 s[0:1], vcc
	s_cbranch_execz .LBB3_75
; %bb.74:
	s_waitcnt lgkmcnt(0)
	v_add_f64 v[1:2], v[1:2], v[3:4]
.LBB3_75:
	s_or_b64 exec, exec, s[0:1]
	v_cmp_gt_u32_e32 vcc, 60, v7
	s_waitcnt lgkmcnt(1)
	v_cndmask_b32_e64 v3, 0, 4, vcc
	s_waitcnt lgkmcnt(0)
	v_add_lshl_u32 v4, v3, v5, 2
	ds_bpermute_b32 v3, v4, v1
	ds_bpermute_b32 v4, v4, v2
	v_add_u32_e32 v8, 4, v5
	;; [unrolled: 16-line block ×4, first 2 shown]
	v_cmp_lt_u32_e32 vcc, v7, v6
	s_and_saveexec_b64 s[0:1], vcc
	s_cbranch_execz .LBB3_81
; %bb.80:
	s_waitcnt lgkmcnt(0)
	v_add_f64 v[1:2], v[1:2], v[3:4]
.LBB3_81:
	s_or_b64 exec, exec, s[0:1]
	v_lshlrev_b32_e32 v7, 2, v5
	s_waitcnt lgkmcnt(0)
	v_or_b32_e32 v4, 0x80, v7
	ds_bpermute_b32 v3, v4, v1
	ds_bpermute_b32 v4, v4, v2
	v_add_u32_e32 v8, 32, v5
	v_cmp_lt_u32_e32 vcc, v8, v6
	s_waitcnt lgkmcnt(0)
	v_add_f64 v[3:4], v[1:2], v[3:4]
	v_cndmask_b32_e32 v4, v2, v4, vcc
	v_cndmask_b32_e32 v3, v1, v3, vcc
	v_cmp_eq_u32_e32 vcc, 0, v5
	s_and_saveexec_b64 s[0:1], vcc
; %bb.82:
	v_lshrrev_b32_e32 v1, 3, v0
	v_and_b32_e32 v1, 8, v1
	ds_write_b64 v1, v[3:4] offset:16
; %bb.83:
	s_or_b64 exec, exec, s[0:1]
	v_cmp_gt_u32_e32 vcc, 2, v0
	s_waitcnt lgkmcnt(0)
	s_barrier
	s_and_saveexec_b64 s[0:1], vcc
	s_cbranch_execz .LBB3_85
; %bb.84:
	v_lshlrev_b32_e32 v1, 3, v5
	ds_read_b64 v[1:2], v1 offset:16
	v_or_b32_e32 v4, 4, v7
	s_add_i32 s2, s2, 63
	v_and_b32_e32 v5, 1, v5
	s_lshr_b32 s2, s2, 6
	s_waitcnt lgkmcnt(0)
	ds_bpermute_b32 v3, v4, v1
	ds_bpermute_b32 v4, v4, v2
	v_add_u32_e32 v5, 1, v5
	v_cmp_gt_u32_e32 vcc, s2, v5
	s_waitcnt lgkmcnt(0)
	v_add_f64 v[3:4], v[1:2], v[3:4]
	v_cndmask_b32_e32 v4, v2, v4, vcc
	v_cndmask_b32_e32 v3, v1, v3, vcc
.LBB3_85:
	s_or_b64 exec, exec, s[0:1]
.LBB3_86:
	v_cmp_eq_u32_e32 vcc, 0, v0
	s_and_saveexec_b64 s[0:1], vcc
	s_cbranch_execnz .LBB3_88
; %bb.87:
	s_endpgm
.LBB3_88:
	v_add_f64 v[0:1], s[70:71], v[3:4]
	s_lshl_b64 s[0:1], s[6:7], 3
	s_add_u32 s0, s68, s0
	s_addc_u32 s1, s69, s1
	s_cmp_eq_u64 s[66:67], 0
	v_mov_b32_e32 v3, s71
	s_cselect_b64 vcc, -1, 0
	v_mov_b32_e32 v2, 0
	v_cndmask_b32_e32 v1, v1, v3, vcc
	v_mov_b32_e32 v3, s70
	v_cndmask_b32_e32 v0, v0, v3, vcc
	global_store_dwordx2 v2, v[0:1], s[0:1]
	s_endpgm
	.section	.rodata,"a",@progbits
	.p2align	6, 0x0
	.amdhsa_kernel _ZN7rocprim6detail19block_reduce_kernelILb1ELb1ELj8ENS0_21wrapped_reduce_configINS_14default_configEdEEdPdS5_dNS_4plusIdEEEEvT4_mT5_T6_T7_
		.amdhsa_group_segment_fixed_size 32
		.amdhsa_private_segment_fixed_size 0
		.amdhsa_kernarg_size 36
		.amdhsa_user_sgpr_count 6
		.amdhsa_user_sgpr_private_segment_buffer 1
		.amdhsa_user_sgpr_dispatch_ptr 0
		.amdhsa_user_sgpr_queue_ptr 0
		.amdhsa_user_sgpr_kernarg_segment_ptr 1
		.amdhsa_user_sgpr_dispatch_id 0
		.amdhsa_user_sgpr_flat_scratch_init 0
		.amdhsa_user_sgpr_private_segment_size 0
		.amdhsa_uses_dynamic_stack 0
		.amdhsa_system_sgpr_private_segment_wavefront_offset 0
		.amdhsa_system_sgpr_workgroup_id_x 1
		.amdhsa_system_sgpr_workgroup_id_y 0
		.amdhsa_system_sgpr_workgroup_id_z 0
		.amdhsa_system_sgpr_workgroup_info 0
		.amdhsa_system_vgpr_workitem_id 0
		.amdhsa_next_free_vgpr 68
		.amdhsa_next_free_sgpr 74
		.amdhsa_reserve_vcc 1
		.amdhsa_reserve_flat_scratch 0
		.amdhsa_float_round_mode_32 0
		.amdhsa_float_round_mode_16_64 0
		.amdhsa_float_denorm_mode_32 3
		.amdhsa_float_denorm_mode_16_64 3
		.amdhsa_dx10_clamp 1
		.amdhsa_ieee_mode 1
		.amdhsa_fp16_overflow 0
		.amdhsa_exception_fp_ieee_invalid_op 0
		.amdhsa_exception_fp_denorm_src 0
		.amdhsa_exception_fp_ieee_div_zero 0
		.amdhsa_exception_fp_ieee_overflow 0
		.amdhsa_exception_fp_ieee_underflow 0
		.amdhsa_exception_fp_ieee_inexact 0
		.amdhsa_exception_int_div_zero 0
	.end_amdhsa_kernel
	.section	.text._ZN7rocprim6detail19block_reduce_kernelILb1ELb1ELj8ENS0_21wrapped_reduce_configINS_14default_configEdEEdPdS5_dNS_4plusIdEEEEvT4_mT5_T6_T7_,"axG",@progbits,_ZN7rocprim6detail19block_reduce_kernelILb1ELb1ELj8ENS0_21wrapped_reduce_configINS_14default_configEdEEdPdS5_dNS_4plusIdEEEEvT4_mT5_T6_T7_,comdat
.Lfunc_end3:
	.size	_ZN7rocprim6detail19block_reduce_kernelILb1ELb1ELj8ENS0_21wrapped_reduce_configINS_14default_configEdEEdPdS5_dNS_4plusIdEEEEvT4_mT5_T6_T7_, .Lfunc_end3-_ZN7rocprim6detail19block_reduce_kernelILb1ELb1ELj8ENS0_21wrapped_reduce_configINS_14default_configEdEEdPdS5_dNS_4plusIdEEEEvT4_mT5_T6_T7_
                                        ; -- End function
	.set _ZN7rocprim6detail19block_reduce_kernelILb1ELb1ELj8ENS0_21wrapped_reduce_configINS_14default_configEdEEdPdS5_dNS_4plusIdEEEEvT4_mT5_T6_T7_.num_vgpr, 68
	.set _ZN7rocprim6detail19block_reduce_kernelILb1ELb1ELj8ENS0_21wrapped_reduce_configINS_14default_configEdEEdPdS5_dNS_4plusIdEEEEvT4_mT5_T6_T7_.num_agpr, 0
	.set _ZN7rocprim6detail19block_reduce_kernelILb1ELb1ELj8ENS0_21wrapped_reduce_configINS_14default_configEdEEdPdS5_dNS_4plusIdEEEEvT4_mT5_T6_T7_.numbered_sgpr, 74
	.set _ZN7rocprim6detail19block_reduce_kernelILb1ELb1ELj8ENS0_21wrapped_reduce_configINS_14default_configEdEEdPdS5_dNS_4plusIdEEEEvT4_mT5_T6_T7_.num_named_barrier, 0
	.set _ZN7rocprim6detail19block_reduce_kernelILb1ELb1ELj8ENS0_21wrapped_reduce_configINS_14default_configEdEEdPdS5_dNS_4plusIdEEEEvT4_mT5_T6_T7_.private_seg_size, 0
	.set _ZN7rocprim6detail19block_reduce_kernelILb1ELb1ELj8ENS0_21wrapped_reduce_configINS_14default_configEdEEdPdS5_dNS_4plusIdEEEEvT4_mT5_T6_T7_.uses_vcc, 1
	.set _ZN7rocprim6detail19block_reduce_kernelILb1ELb1ELj8ENS0_21wrapped_reduce_configINS_14default_configEdEEdPdS5_dNS_4plusIdEEEEvT4_mT5_T6_T7_.uses_flat_scratch, 0
	.set _ZN7rocprim6detail19block_reduce_kernelILb1ELb1ELj8ENS0_21wrapped_reduce_configINS_14default_configEdEEdPdS5_dNS_4plusIdEEEEvT4_mT5_T6_T7_.has_dyn_sized_stack, 0
	.set _ZN7rocprim6detail19block_reduce_kernelILb1ELb1ELj8ENS0_21wrapped_reduce_configINS_14default_configEdEEdPdS5_dNS_4plusIdEEEEvT4_mT5_T6_T7_.has_recursion, 0
	.set _ZN7rocprim6detail19block_reduce_kernelILb1ELb1ELj8ENS0_21wrapped_reduce_configINS_14default_configEdEEdPdS5_dNS_4plusIdEEEEvT4_mT5_T6_T7_.has_indirect_call, 0
	.section	.AMDGPU.csdata,"",@progbits
; Kernel info:
; codeLenInByte = 3984
; TotalNumSgprs: 78
; NumVgprs: 68
; ScratchSize: 0
; MemoryBound: 0
; FloatMode: 240
; IeeeMode: 1
; LDSByteSize: 32 bytes/workgroup (compile time only)
; SGPRBlocks: 9
; VGPRBlocks: 16
; NumSGPRsForWavesPerEU: 78
; NumVGPRsForWavesPerEU: 68
; Occupancy: 3
; WaveLimiterHint : 1
; COMPUTE_PGM_RSRC2:SCRATCH_EN: 0
; COMPUTE_PGM_RSRC2:USER_SGPR: 6
; COMPUTE_PGM_RSRC2:TRAP_HANDLER: 0
; COMPUTE_PGM_RSRC2:TGID_X_EN: 1
; COMPUTE_PGM_RSRC2:TGID_Y_EN: 0
; COMPUTE_PGM_RSRC2:TGID_Z_EN: 0
; COMPUTE_PGM_RSRC2:TIDIG_COMP_CNT: 0
	.section	.text._ZN7rocprim6detail19block_reduce_kernelILb1ELb1ELj16ENS0_21wrapped_reduce_configINS_14default_configEdEEdPdS5_dNS_4plusIdEEEEvT4_mT5_T6_T7_,"axG",@progbits,_ZN7rocprim6detail19block_reduce_kernelILb1ELb1ELj16ENS0_21wrapped_reduce_configINS_14default_configEdEEdPdS5_dNS_4plusIdEEEEvT4_mT5_T6_T7_,comdat
	.protected	_ZN7rocprim6detail19block_reduce_kernelILb1ELb1ELj16ENS0_21wrapped_reduce_configINS_14default_configEdEEdPdS5_dNS_4plusIdEEEEvT4_mT5_T6_T7_ ; -- Begin function _ZN7rocprim6detail19block_reduce_kernelILb1ELb1ELj16ENS0_21wrapped_reduce_configINS_14default_configEdEEdPdS5_dNS_4plusIdEEEEvT4_mT5_T6_T7_
	.globl	_ZN7rocprim6detail19block_reduce_kernelILb1ELb1ELj16ENS0_21wrapped_reduce_configINS_14default_configEdEEdPdS5_dNS_4plusIdEEEEvT4_mT5_T6_T7_
	.p2align	8
	.type	_ZN7rocprim6detail19block_reduce_kernelILb1ELb1ELj16ENS0_21wrapped_reduce_configINS_14default_configEdEEdPdS5_dNS_4plusIdEEEEvT4_mT5_T6_T7_,@function
_ZN7rocprim6detail19block_reduce_kernelILb1ELb1ELj16ENS0_21wrapped_reduce_configINS_14default_configEdEEdPdS5_dNS_4plusIdEEEEvT4_mT5_T6_T7_: ; @_ZN7rocprim6detail19block_reduce_kernelILb1ELb1ELj16ENS0_21wrapped_reduce_configINS_14default_configEdEEdPdS5_dNS_4plusIdEEEEvT4_mT5_T6_T7_
; %bb.0:
	s_load_dwordx8 s[40:47], s[4:5], 0x0
	s_lshl_b32 s0, s6, 13
	s_mov_b32 s1, 0
	s_lshl_b64 s[4:5], s[0:1], 3
	s_mov_b32 s7, s1
	s_waitcnt lgkmcnt(0)
	s_lshr_b64 s[2:3], s[42:43], 13
	s_add_u32 s1, s40, s4
	s_addc_u32 s4, s41, s5
	v_lshlrev_b32_e32 v1, 3, v0
	v_mov_b32_e32 v2, s4
	v_add_co_u32_e32 v1, vcc, s1, v1
	s_cmp_lg_u64 s[2:3], s[6:7]
	v_addc_co_u32_e32 v2, vcc, 0, v2, vcc
	v_mbcnt_lo_u32_b32 v131, -1, 0
	s_cbranch_scc0 .LBB4_6
; %bb.1:
	global_load_dwordx2 v[3:4], v[1:2], off
	global_load_dwordx2 v[5:6], v[1:2], off offset:1024
	global_load_dwordx2 v[7:8], v[1:2], off offset:2048
	;; [unrolled: 1-line block ×3, first 2 shown]
	v_add_co_u32_e32 v11, vcc, 0x1000, v1
	v_addc_co_u32_e32 v12, vcc, 0, v2, vcc
	global_load_dwordx2 v[13:14], v[11:12], off
	global_load_dwordx2 v[15:16], v[11:12], off offset:1024
	global_load_dwordx2 v[17:18], v[11:12], off offset:2048
	global_load_dwordx2 v[19:20], v[11:12], off offset:3072
	v_add_co_u32_e32 v11, vcc, 0x2000, v1
	v_addc_co_u32_e32 v12, vcc, 0, v2, vcc
	global_load_dwordx2 v[21:22], v[11:12], off
	global_load_dwordx2 v[23:24], v[11:12], off offset:1024
	global_load_dwordx2 v[25:26], v[11:12], off offset:2048
	s_waitcnt vmcnt(9)
	v_add_f64 v[3:4], v[3:4], v[5:6]
	global_load_dwordx2 v[5:6], v[11:12], off offset:3072
	v_add_co_u32_e32 v11, vcc, 0x3000, v1
	v_addc_co_u32_e32 v12, vcc, 0, v2, vcc
	s_waitcnt vmcnt(9)
	v_add_f64 v[3:4], v[3:4], v[7:8]
	global_load_dwordx2 v[7:8], v[11:12], off
	s_waitcnt vmcnt(9)
	v_add_f64 v[3:4], v[3:4], v[9:10]
	global_load_dwordx2 v[9:10], v[11:12], off offset:1024
	s_waitcnt vmcnt(9)
	v_add_f64 v[3:4], v[3:4], v[13:14]
	global_load_dwordx2 v[13:14], v[11:12], off offset:2048
	global_load_dwordx2 v[27:28], v[11:12], off offset:3072
	v_add_co_u32_e32 v11, vcc, 0x4000, v1
	v_addc_co_u32_e32 v12, vcc, 0, v2, vcc
	s_waitcnt vmcnt(10)
	v_add_f64 v[3:4], v[3:4], v[15:16]
	global_load_dwordx2 v[15:16], v[11:12], off
	s_waitcnt vmcnt(10)
	v_add_f64 v[3:4], v[3:4], v[17:18]
	global_load_dwordx2 v[17:18], v[11:12], off offset:1024
	s_waitcnt vmcnt(10)
	v_add_f64 v[3:4], v[3:4], v[19:20]
	global_load_dwordx2 v[19:20], v[11:12], off offset:2048
	s_waitcnt vmcnt(10)
	v_add_f64 v[3:4], v[3:4], v[21:22]
	v_add_co_u32_e32 v21, vcc, 0x5000, v1
	v_addc_co_u32_e32 v22, vcc, 0, v2, vcc
	s_waitcnt vmcnt(9)
	v_add_f64 v[3:4], v[3:4], v[23:24]
	global_load_dwordx2 v[23:24], v[21:22], off
	s_waitcnt vmcnt(9)
	v_add_f64 v[3:4], v[3:4], v[25:26]
	global_load_dwordx2 v[11:12], v[11:12], off offset:3072
	s_waitcnt vmcnt(9)
	v_add_f64 v[3:4], v[3:4], v[5:6]
	global_load_dwordx2 v[5:6], v[21:22], off offset:1024
	;; [unrolled: 3-line block ×4, first 2 shown]
	v_add_co_u32_e32 v21, vcc, 0x6000, v1
	v_addc_co_u32_e32 v22, vcc, 0, v2, vcc
	global_load_dwordx2 v[25:26], v[21:22], off offset:1024
	s_waitcnt vmcnt(10)
	v_add_f64 v[3:4], v[3:4], v[13:14]
	global_load_dwordx2 v[13:14], v[21:22], off
	s_waitcnt vmcnt(10)
	v_add_f64 v[3:4], v[3:4], v[27:28]
	s_waitcnt vmcnt(9)
	v_add_f64 v[3:4], v[3:4], v[15:16]
	global_load_dwordx2 v[15:16], v[21:22], off offset:2048
	global_load_dwordx2 v[27:28], v[21:22], off offset:3072
	s_waitcnt vmcnt(10)
	v_add_f64 v[3:4], v[3:4], v[17:18]
	v_add_co_u32_e32 v17, vcc, 0x7000, v1
	v_addc_co_u32_e32 v18, vcc, 0, v2, vcc
	global_load_dwordx2 v[21:22], v[17:18], off
	s_waitcnt vmcnt(10)
	v_add_f64 v[3:4], v[3:4], v[19:20]
	global_load_dwordx2 v[19:20], v[17:18], off offset:2048
	s_waitcnt vmcnt(9)
	v_add_f64 v[3:4], v[3:4], v[11:12]
	global_load_dwordx2 v[11:12], v[17:18], off offset:1024
	v_add_f64 v[3:4], v[3:4], v[23:24]
	s_waitcnt vmcnt(9)
	v_add_f64 v[3:4], v[3:4], v[5:6]
	global_load_dwordx2 v[5:6], v[17:18], off offset:3072
	v_add_co_u32_e32 v17, vcc, 0x8000, v1
	v_addc_co_u32_e32 v18, vcc, 0, v2, vcc
	v_add_co_u32_e32 v23, vcc, 0x9000, v1
	s_waitcnt vmcnt(9)
	v_add_f64 v[3:4], v[3:4], v[7:8]
	global_load_dwordx2 v[7:8], v[17:18], off
	v_addc_co_u32_e32 v24, vcc, 0, v2, vcc
	s_waitcnt vmcnt(9)
	v_add_f64 v[3:4], v[3:4], v[9:10]
	global_load_dwordx2 v[9:10], v[17:18], off offset:1024
	s_waitcnt vmcnt(8)
	v_add_f64 v[3:4], v[3:4], v[13:14]
	global_load_dwordx2 v[13:14], v[17:18], off offset:2048
	v_add_f64 v[3:4], v[3:4], v[25:26]
	global_load_dwordx2 v[25:26], v[23:24], off offset:1024
	s_waitcnt vmcnt(9)
	v_add_f64 v[3:4], v[3:4], v[15:16]
	global_load_dwordx2 v[15:16], v[23:24], off
	s_waitcnt vmcnt(9)
	v_add_f64 v[3:4], v[3:4], v[27:28]
	global_load_dwordx2 v[17:18], v[17:18], off offset:3072
	s_waitcnt vmcnt(9)
	v_add_f64 v[3:4], v[3:4], v[21:22]
	global_load_dwordx2 v[21:22], v[23:24], off offset:2048
	global_load_dwordx2 v[27:28], v[23:24], off offset:3072
	s_waitcnt vmcnt(9)
	v_add_f64 v[3:4], v[3:4], v[11:12]
	v_add_co_u32_e32 v11, vcc, 0xa000, v1
	v_addc_co_u32_e32 v12, vcc, 0, v2, vcc
	global_load_dwordx2 v[23:24], v[11:12], off
	v_add_f64 v[3:4], v[3:4], v[19:20]
	s_waitcnt vmcnt(9)
	v_add_f64 v[3:4], v[3:4], v[5:6]
	global_load_dwordx2 v[5:6], v[11:12], off offset:1024
	s_waitcnt vmcnt(9)
	v_add_f64 v[3:4], v[3:4], v[7:8]
	global_load_dwordx2 v[7:8], v[11:12], off offset:2048
	;; [unrolled: 3-line block ×3, first 2 shown]
	v_add_co_u32_e32 v11, vcc, 0xb000, v1
	v_addc_co_u32_e32 v12, vcc, 0, v2, vcc
	v_add_co_u32_e32 v19, vcc, 0xc000, v1
	s_waitcnt vmcnt(9)
	v_add_f64 v[3:4], v[3:4], v[13:14]
	global_load_dwordx2 v[13:14], v[11:12], off
	v_addc_co_u32_e32 v20, vcc, 0, v2, vcc
	s_waitcnt vmcnt(7)
	v_add_f64 v[3:4], v[3:4], v[17:18]
	global_load_dwordx2 v[17:18], v[11:12], off offset:1024
	v_add_f64 v[3:4], v[3:4], v[15:16]
	global_load_dwordx2 v[15:16], v[11:12], off offset:2048
	;; [unrolled: 2-line block ×3, first 2 shown]
	s_waitcnt vmcnt(9)
	v_add_f64 v[3:4], v[3:4], v[21:22]
	global_load_dwordx2 v[21:22], v[19:20], off
	s_waitcnt vmcnt(9)
	v_add_f64 v[3:4], v[3:4], v[27:28]
	global_load_dwordx2 v[11:12], v[11:12], off offset:3072
	s_waitcnt vmcnt(9)
	v_add_f64 v[3:4], v[3:4], v[23:24]
	global_load_dwordx2 v[23:24], v[19:20], off offset:2048
	global_load_dwordx2 v[27:28], v[19:20], off offset:3072
	s_waitcnt vmcnt(10)
	v_add_f64 v[3:4], v[3:4], v[5:6]
	v_add_co_u32_e32 v5, vcc, 0xd000, v1
	v_addc_co_u32_e32 v6, vcc, 0, v2, vcc
	global_load_dwordx2 v[19:20], v[5:6], off
	s_waitcnt vmcnt(10)
	v_add_f64 v[3:4], v[3:4], v[7:8]
	global_load_dwordx2 v[7:8], v[5:6], off offset:1024
	s_waitcnt vmcnt(10)
	v_add_f64 v[3:4], v[3:4], v[9:10]
	global_load_dwordx2 v[9:10], v[5:6], off offset:2048
	s_waitcnt vmcnt(10)
	v_add_f64 v[3:4], v[3:4], v[13:14]
	v_add_co_u32_e32 v13, vcc, 0xe000, v1
	v_addc_co_u32_e32 v14, vcc, 0, v2, vcc
	s_waitcnt vmcnt(9)
	v_add_f64 v[3:4], v[3:4], v[17:18]
	global_load_dwordx2 v[17:18], v[13:14], off offset:2048
	s_waitcnt vmcnt(9)
	v_add_f64 v[3:4], v[3:4], v[15:16]
	global_load_dwordx2 v[15:16], v[13:14], off
	s_waitcnt vmcnt(7)
	v_add_f64 v[3:4], v[3:4], v[11:12]
	global_load_dwordx2 v[5:6], v[5:6], off offset:3072
	v_add_f64 v[3:4], v[3:4], v[21:22]
	global_load_dwordx2 v[11:12], v[13:14], off offset:1024
	v_add_co_u32_e32 v21, vcc, 0xf000, v1
	v_addc_co_u32_e32 v22, vcc, 0, v2, vcc
	v_add_f64 v[3:4], v[3:4], v[25:26]
	global_load_dwordx2 v[25:26], v[21:22], off offset:1024
	s_waitcnt vmcnt(9)
	v_add_f64 v[3:4], v[3:4], v[23:24]
	global_load_dwordx2 v[23:24], v[21:22], off
	s_waitcnt vmcnt(9)
	v_add_f64 v[3:4], v[3:4], v[27:28]
	global_load_dwordx2 v[13:14], v[13:14], off offset:3072
	s_waitcnt vmcnt(9)
	v_add_f64 v[3:4], v[3:4], v[19:20]
	global_load_dwordx2 v[19:20], v[21:22], off offset:2048
	global_load_dwordx2 v[27:28], v[21:22], off offset:3072
	s_waitcnt vmcnt(10)
	v_add_f64 v[3:4], v[3:4], v[7:8]
	s_waitcnt vmcnt(9)
	v_add_f64 v[3:4], v[3:4], v[9:10]
	s_waitcnt vmcnt(6)
	v_add_f64 v[3:4], v[3:4], v[5:6]
	v_add_f64 v[3:4], v[3:4], v[15:16]
	s_waitcnt vmcnt(5)
	v_add_f64 v[3:4], v[3:4], v[11:12]
	v_add_f64 v[3:4], v[3:4], v[17:18]
	s_waitcnt vmcnt(2)
	v_add_f64 v[3:4], v[3:4], v[13:14]
	v_add_f64 v[3:4], v[3:4], v[23:24]
	;; [unrolled: 1-line block ×3, first 2 shown]
	s_waitcnt vmcnt(1)
	v_add_f64 v[3:4], v[3:4], v[19:20]
	s_waitcnt vmcnt(0)
	v_add_f64 v[3:4], v[3:4], v[27:28]
	s_nop 1
	v_mov_b32_dpp v5, v3 quad_perm:[1,0,3,2] row_mask:0xf bank_mask:0xf
	v_mov_b32_dpp v6, v4 quad_perm:[1,0,3,2] row_mask:0xf bank_mask:0xf
	v_add_f64 v[3:4], v[3:4], v[5:6]
	s_nop 1
	v_mov_b32_dpp v5, v3 quad_perm:[2,3,0,1] row_mask:0xf bank_mask:0xf
	v_mov_b32_dpp v6, v4 quad_perm:[2,3,0,1] row_mask:0xf bank_mask:0xf
	v_add_f64 v[3:4], v[3:4], v[5:6]
	s_nop 1
	v_mov_b32_dpp v5, v3 row_ror:4 row_mask:0xf bank_mask:0xf
	v_mov_b32_dpp v6, v4 row_ror:4 row_mask:0xf bank_mask:0xf
	v_add_f64 v[3:4], v[3:4], v[5:6]
	s_nop 1
	v_mov_b32_dpp v5, v3 row_ror:8 row_mask:0xf bank_mask:0xf
	v_mov_b32_dpp v6, v4 row_ror:8 row_mask:0xf bank_mask:0xf
	v_add_f64 v[3:4], v[3:4], v[5:6]
	s_nop 1
	v_mov_b32_dpp v5, v3 row_bcast:15 row_mask:0xf bank_mask:0xf
	v_mov_b32_dpp v6, v4 row_bcast:15 row_mask:0xf bank_mask:0xf
	v_add_f64 v[3:4], v[3:4], v[5:6]
	s_nop 1
	v_mov_b32_dpp v5, v3 row_bcast:31 row_mask:0xf bank_mask:0xf
	v_mov_b32_dpp v6, v4 row_bcast:31 row_mask:0xf bank_mask:0xf
	v_add_f64 v[3:4], v[3:4], v[5:6]
	v_mbcnt_hi_u32_b32 v6, -1, v131
	v_lshlrev_b32_e32 v5, 2, v6
	v_or_b32_e32 v7, 0xfc, v5
	v_cmp_eq_u32_e32 vcc, 0, v6
	ds_bpermute_b32 v3, v7, v3
	ds_bpermute_b32 v4, v7, v4
	s_and_saveexec_b64 s[2:3], vcc
	s_cbranch_execz .LBB4_3
; %bb.2:
	v_lshrrev_b32_e32 v7, 3, v0
	v_and_b32_e32 v7, 8, v7
	s_waitcnt lgkmcnt(0)
	ds_write_b64 v7, v[3:4]
.LBB4_3:
	s_or_b64 exec, exec, s[2:3]
	v_cmp_gt_u32_e32 vcc, 64, v0
	s_waitcnt lgkmcnt(0)
	s_barrier
	s_and_saveexec_b64 s[2:3], vcc
	s_cbranch_execz .LBB4_5
; %bb.4:
	v_and_b32_e32 v3, 1, v6
	v_lshlrev_b32_e32 v3, 3, v3
	ds_read_b64 v[3:4], v3
	v_or_b32_e32 v6, 4, v5
	s_waitcnt lgkmcnt(0)
	ds_bpermute_b32 v5, v6, v3
	ds_bpermute_b32 v6, v6, v4
	s_waitcnt lgkmcnt(0)
	v_add_f64 v[3:4], v[3:4], v[5:6]
.LBB4_5:
	s_or_b64 exec, exec, s[2:3]
	s_branch .LBB4_150
.LBB4_6:
                                        ; implicit-def: $vgpr3_vgpr4
	s_cbranch_execz .LBB4_150
; %bb.7:
	s_sub_i32 s33, s42, s0
	v_cmp_gt_u32_e32 vcc, s33, v0
                                        ; implicit-def: $vgpr3_vgpr4
	s_and_saveexec_b64 s[0:1], vcc
	s_cbranch_execz .LBB4_9
; %bb.8:
	global_load_dwordx2 v[3:4], v[1:2], off
.LBB4_9:
	s_or_b64 exec, exec, s[0:1]
	v_or_b32_e32 v5, 0x80, v0
	v_cmp_gt_u32_e64 s[2:3], s33, v5
                                        ; implicit-def: $vgpr5_vgpr6
	s_mov_b64 s[0:1], exec
                                        ; implicit-def: $vgpr132 : SGPR spill to VGPR lane
	v_writelane_b32 v132, s2, 0
	v_writelane_b32 v132, s3, 1
	s_and_b64 s[2:3], s[0:1], s[2:3]
	s_mov_b64 exec, s[2:3]
	s_cbranch_execz .LBB4_11
; %bb.10:
	global_load_dwordx2 v[5:6], v[1:2], off offset:1024
.LBB4_11:
	s_or_b64 exec, exec, s[0:1]
	v_or_b32_e32 v7, 0x100, v0
	v_cmp_gt_u32_e64 s[2:3], s33, v7
                                        ; implicit-def: $vgpr7_vgpr8
	s_mov_b64 s[0:1], exec
	v_writelane_b32 v132, s2, 2
	v_writelane_b32 v132, s3, 3
	s_and_b64 s[2:3], s[0:1], s[2:3]
	s_mov_b64 exec, s[2:3]
	s_cbranch_execz .LBB4_13
; %bb.12:
	global_load_dwordx2 v[7:8], v[1:2], off offset:2048
.LBB4_13:
	s_or_b64 exec, exec, s[0:1]
	v_or_b32_e32 v9, 0x180, v0
	v_cmp_gt_u32_e64 s[2:3], s33, v9
                                        ; implicit-def: $vgpr9_vgpr10
	s_mov_b64 s[0:1], exec
	v_writelane_b32 v132, s2, 4
	v_writelane_b32 v132, s3, 5
	s_and_b64 s[2:3], s[0:1], s[2:3]
	s_mov_b64 exec, s[2:3]
	s_cbranch_execz .LBB4_15
; %bb.14:
	global_load_dwordx2 v[9:10], v[1:2], off offset:3072
.LBB4_15:
	s_or_b64 exec, exec, s[0:1]
	v_or_b32_e32 v11, 0x200, v0
	v_cmp_gt_u32_e64 s[2:3], s33, v11
                                        ; implicit-def: $vgpr11_vgpr12
	s_mov_b64 s[0:1], exec
	v_writelane_b32 v132, s2, 6
	v_writelane_b32 v132, s3, 7
	s_and_b64 s[2:3], s[0:1], s[2:3]
	s_mov_b64 exec, s[2:3]
	s_cbranch_execz .LBB4_17
; %bb.16:
	v_add_co_u32_e32 v11, vcc, 0x1000, v1
	v_addc_co_u32_e32 v12, vcc, 0, v2, vcc
	global_load_dwordx2 v[11:12], v[11:12], off
.LBB4_17:
	s_or_b64 exec, exec, s[0:1]
	v_or_b32_e32 v13, 0x280, v0
	v_cmp_gt_u32_e64 s[2:3], s33, v13
                                        ; implicit-def: $vgpr13_vgpr14
	s_mov_b64 s[0:1], exec
	v_writelane_b32 v132, s2, 8
	v_writelane_b32 v132, s3, 9
	s_and_b64 s[2:3], s[0:1], s[2:3]
	s_mov_b64 exec, s[2:3]
	s_cbranch_execz .LBB4_19
; %bb.18:
	v_add_co_u32_e32 v13, vcc, 0x1000, v1
	v_addc_co_u32_e32 v14, vcc, 0, v2, vcc
	global_load_dwordx2 v[13:14], v[13:14], off offset:1024
.LBB4_19:
	s_or_b64 exec, exec, s[0:1]
	v_or_b32_e32 v15, 0x300, v0
	v_cmp_gt_u32_e64 s[2:3], s33, v15
                                        ; implicit-def: $vgpr15_vgpr16
	s_mov_b64 s[0:1], exec
	v_writelane_b32 v132, s2, 10
	v_writelane_b32 v132, s3, 11
	s_and_b64 s[2:3], s[0:1], s[2:3]
	s_mov_b64 exec, s[2:3]
	s_cbranch_execz .LBB4_21
; %bb.20:
	v_add_co_u32_e32 v15, vcc, 0x1000, v1
	v_addc_co_u32_e32 v16, vcc, 0, v2, vcc
	global_load_dwordx2 v[15:16], v[15:16], off offset:2048
.LBB4_21:
	s_or_b64 exec, exec, s[0:1]
	v_or_b32_e32 v17, 0x380, v0
	v_cmp_gt_u32_e64 s[2:3], s33, v17
                                        ; implicit-def: $vgpr17_vgpr18
	s_mov_b64 s[0:1], exec
	v_writelane_b32 v132, s2, 12
	v_writelane_b32 v132, s3, 13
	s_and_b64 s[2:3], s[0:1], s[2:3]
	s_mov_b64 exec, s[2:3]
	s_cbranch_execz .LBB4_23
; %bb.22:
	v_add_co_u32_e32 v17, vcc, 0x1000, v1
	v_addc_co_u32_e32 v18, vcc, 0, v2, vcc
	global_load_dwordx2 v[17:18], v[17:18], off offset:3072
.LBB4_23:
	s_or_b64 exec, exec, s[0:1]
	v_or_b32_e32 v19, 0x400, v0
	v_cmp_gt_u32_e64 s[2:3], s33, v19
                                        ; implicit-def: $vgpr19_vgpr20
	s_mov_b64 s[0:1], exec
	v_writelane_b32 v132, s2, 14
	v_writelane_b32 v132, s3, 15
	s_and_b64 s[2:3], s[0:1], s[2:3]
	s_mov_b64 exec, s[2:3]
	s_cbranch_execz .LBB4_25
; %bb.24:
	v_add_co_u32_e32 v19, vcc, 0x2000, v1
	v_addc_co_u32_e32 v20, vcc, 0, v2, vcc
	global_load_dwordx2 v[19:20], v[19:20], off
.LBB4_25:
	s_or_b64 exec, exec, s[0:1]
	v_or_b32_e32 v21, 0x480, v0
	v_cmp_gt_u32_e64 s[2:3], s33, v21
                                        ; implicit-def: $vgpr21_vgpr22
	s_mov_b64 s[0:1], exec
	v_writelane_b32 v132, s2, 16
	v_writelane_b32 v132, s3, 17
	s_and_b64 s[2:3], s[0:1], s[2:3]
	s_mov_b64 exec, s[2:3]
	s_cbranch_execz .LBB4_27
; %bb.26:
	v_add_co_u32_e32 v21, vcc, 0x2000, v1
	v_addc_co_u32_e32 v22, vcc, 0, v2, vcc
	global_load_dwordx2 v[21:22], v[21:22], off offset:1024
.LBB4_27:
	s_or_b64 exec, exec, s[0:1]
	v_or_b32_e32 v23, 0x500, v0
	v_cmp_gt_u32_e64 s[2:3], s33, v23
                                        ; implicit-def: $vgpr23_vgpr24
	s_mov_b64 s[0:1], exec
	v_writelane_b32 v132, s2, 18
	v_writelane_b32 v132, s3, 19
	s_and_b64 s[2:3], s[0:1], s[2:3]
	s_mov_b64 exec, s[2:3]
	s_cbranch_execz .LBB4_29
; %bb.28:
	v_add_co_u32_e32 v23, vcc, 0x2000, v1
	v_addc_co_u32_e32 v24, vcc, 0, v2, vcc
	global_load_dwordx2 v[23:24], v[23:24], off offset:2048
.LBB4_29:
	s_or_b64 exec, exec, s[0:1]
	v_or_b32_e32 v25, 0x580, v0
	v_cmp_gt_u32_e64 s[2:3], s33, v25
                                        ; implicit-def: $vgpr25_vgpr26
	s_mov_b64 s[0:1], exec
	v_writelane_b32 v132, s2, 20
	v_writelane_b32 v132, s3, 21
	s_and_b64 s[2:3], s[0:1], s[2:3]
	s_mov_b64 exec, s[2:3]
	s_cbranch_execz .LBB4_31
; %bb.30:
	v_add_co_u32_e32 v25, vcc, 0x2000, v1
	v_addc_co_u32_e32 v26, vcc, 0, v2, vcc
	global_load_dwordx2 v[25:26], v[25:26], off offset:3072
.LBB4_31:
	s_or_b64 exec, exec, s[0:1]
	v_or_b32_e32 v27, 0x600, v0
	v_cmp_gt_u32_e64 s[2:3], s33, v27
                                        ; implicit-def: $vgpr27_vgpr28
	s_mov_b64 s[0:1], exec
	v_writelane_b32 v132, s2, 22
	v_writelane_b32 v132, s3, 23
	s_and_b64 s[2:3], s[0:1], s[2:3]
	s_mov_b64 exec, s[2:3]
	s_cbranch_execz .LBB4_33
; %bb.32:
	v_add_co_u32_e32 v27, vcc, 0x3000, v1
	v_addc_co_u32_e32 v28, vcc, 0, v2, vcc
	global_load_dwordx2 v[27:28], v[27:28], off
.LBB4_33:
	s_or_b64 exec, exec, s[0:1]
	v_or_b32_e32 v29, 0x680, v0
	v_cmp_gt_u32_e64 s[2:3], s33, v29
                                        ; implicit-def: $vgpr29_vgpr30
	s_mov_b64 s[0:1], exec
	v_writelane_b32 v132, s2, 24
	v_writelane_b32 v132, s3, 25
	s_and_b64 s[2:3], s[0:1], s[2:3]
	s_mov_b64 exec, s[2:3]
	s_cbranch_execz .LBB4_35
; %bb.34:
	v_add_co_u32_e32 v29, vcc, 0x3000, v1
	v_addc_co_u32_e32 v30, vcc, 0, v2, vcc
	global_load_dwordx2 v[29:30], v[29:30], off offset:1024
.LBB4_35:
	s_or_b64 exec, exec, s[0:1]
	v_or_b32_e32 v31, 0x700, v0
	v_cmp_gt_u32_e64 s[2:3], s33, v31
                                        ; implicit-def: $vgpr31_vgpr32
	s_mov_b64 s[0:1], exec
	v_writelane_b32 v132, s2, 26
	v_writelane_b32 v132, s3, 27
	s_and_b64 s[2:3], s[0:1], s[2:3]
	s_mov_b64 exec, s[2:3]
	s_cbranch_execz .LBB4_37
; %bb.36:
	v_add_co_u32_e32 v31, vcc, 0x3000, v1
	v_addc_co_u32_e32 v32, vcc, 0, v2, vcc
	global_load_dwordx2 v[31:32], v[31:32], off offset:2048
.LBB4_37:
	s_or_b64 exec, exec, s[0:1]
	v_or_b32_e32 v33, 0x780, v0
	v_cmp_gt_u32_e64 s[2:3], s33, v33
                                        ; implicit-def: $vgpr33_vgpr34
	s_mov_b64 s[0:1], exec
	v_writelane_b32 v132, s2, 28
	v_writelane_b32 v132, s3, 29
	s_and_b64 s[2:3], s[0:1], s[2:3]
	s_mov_b64 exec, s[2:3]
	s_cbranch_execz .LBB4_39
; %bb.38:
	v_add_co_u32_e32 v33, vcc, 0x3000, v1
	v_addc_co_u32_e32 v34, vcc, 0, v2, vcc
	global_load_dwordx2 v[33:34], v[33:34], off offset:3072
.LBB4_39:
	s_or_b64 exec, exec, s[0:1]
	v_or_b32_e32 v35, 0x800, v0
	v_cmp_gt_u32_e64 s[2:3], s33, v35
                                        ; implicit-def: $vgpr35_vgpr36
	s_mov_b64 s[0:1], exec
	v_writelane_b32 v132, s2, 30
	v_writelane_b32 v132, s3, 31
	s_and_b64 s[2:3], s[0:1], s[2:3]
	s_mov_b64 exec, s[2:3]
	s_cbranch_execz .LBB4_41
; %bb.40:
	v_add_co_u32_e32 v35, vcc, 0x4000, v1
	v_addc_co_u32_e32 v36, vcc, 0, v2, vcc
	global_load_dwordx2 v[35:36], v[35:36], off
.LBB4_41:
	s_or_b64 exec, exec, s[0:1]
	v_or_b32_e32 v37, 0x880, v0
	v_cmp_gt_u32_e64 s[2:3], s33, v37
                                        ; implicit-def: $vgpr37_vgpr38
	s_mov_b64 s[0:1], exec
	v_writelane_b32 v132, s2, 32
	v_writelane_b32 v132, s3, 33
	s_and_b64 s[2:3], s[0:1], s[2:3]
	s_mov_b64 exec, s[2:3]
	s_cbranch_execz .LBB4_43
; %bb.42:
	v_add_co_u32_e32 v37, vcc, 0x4000, v1
	v_addc_co_u32_e32 v38, vcc, 0, v2, vcc
	global_load_dwordx2 v[37:38], v[37:38], off offset:1024
.LBB4_43:
	s_or_b64 exec, exec, s[0:1]
	v_or_b32_e32 v39, 0x900, v0
	v_cmp_gt_u32_e64 s[2:3], s33, v39
                                        ; implicit-def: $vgpr39_vgpr40
	s_mov_b64 s[0:1], exec
	v_writelane_b32 v132, s2, 34
	v_writelane_b32 v132, s3, 35
	s_and_b64 s[2:3], s[0:1], s[2:3]
	s_mov_b64 exec, s[2:3]
	s_cbranch_execz .LBB4_45
; %bb.44:
	v_add_co_u32_e32 v39, vcc, 0x4000, v1
	v_addc_co_u32_e32 v40, vcc, 0, v2, vcc
	global_load_dwordx2 v[39:40], v[39:40], off offset:2048
.LBB4_45:
	s_or_b64 exec, exec, s[0:1]
	v_or_b32_e32 v41, 0x980, v0
	v_cmp_gt_u32_e64 s[2:3], s33, v41
                                        ; implicit-def: $vgpr41_vgpr42
	s_mov_b64 s[0:1], exec
	v_writelane_b32 v132, s2, 36
	v_writelane_b32 v132, s3, 37
	s_and_b64 s[2:3], s[0:1], s[2:3]
	s_mov_b64 exec, s[2:3]
	s_cbranch_execz .LBB4_47
; %bb.46:
	v_add_co_u32_e32 v41, vcc, 0x4000, v1
	v_addc_co_u32_e32 v42, vcc, 0, v2, vcc
	global_load_dwordx2 v[41:42], v[41:42], off offset:3072
.LBB4_47:
	s_or_b64 exec, exec, s[0:1]
	v_or_b32_e32 v43, 0xa00, v0
	v_cmp_gt_u32_e64 s[38:39], s33, v43
                                        ; implicit-def: $vgpr43_vgpr44
	s_and_saveexec_b64 s[0:1], s[38:39]
	s_cbranch_execz .LBB4_49
; %bb.48:
	v_add_co_u32_e32 v43, vcc, 0x5000, v1
	v_addc_co_u32_e32 v44, vcc, 0, v2, vcc
	global_load_dwordx2 v[43:44], v[43:44], off
.LBB4_49:
	s_or_b64 exec, exec, s[0:1]
	v_or_b32_e32 v45, 0xa80, v0
	v_cmp_gt_u32_e64 s[2:3], s33, v45
                                        ; implicit-def: $vgpr45_vgpr46
	s_mov_b64 s[0:1], exec
	v_writelane_b32 v132, s2, 38
	v_writelane_b32 v132, s3, 39
	s_and_b64 s[2:3], s[0:1], s[2:3]
	s_mov_b64 exec, s[2:3]
	s_cbranch_execz .LBB4_51
; %bb.50:
	v_add_co_u32_e32 v45, vcc, 0x5000, v1
	v_addc_co_u32_e32 v46, vcc, 0, v2, vcc
	global_load_dwordx2 v[45:46], v[45:46], off offset:1024
.LBB4_51:
	s_or_b64 exec, exec, s[0:1]
	v_or_b32_e32 v47, 0xb00, v0
	v_cmp_gt_u32_e64 s[2:3], s33, v47
                                        ; implicit-def: $vgpr47_vgpr48
	s_mov_b64 s[0:1], exec
	v_writelane_b32 v132, s2, 40
	v_writelane_b32 v132, s3, 41
	s_and_b64 s[2:3], s[0:1], s[2:3]
	s_mov_b64 exec, s[2:3]
	s_cbranch_execz .LBB4_53
; %bb.52:
	v_add_co_u32_e32 v47, vcc, 0x5000, v1
	v_addc_co_u32_e32 v48, vcc, 0, v2, vcc
	global_load_dwordx2 v[47:48], v[47:48], off offset:2048
.LBB4_53:
	s_or_b64 exec, exec, s[0:1]
	v_or_b32_e32 v49, 0xb80, v0
	v_cmp_gt_u32_e64 s[48:49], s33, v49
                                        ; implicit-def: $vgpr49_vgpr50
	s_and_saveexec_b64 s[0:1], s[48:49]
	s_cbranch_execz .LBB4_55
; %bb.54:
	v_add_co_u32_e32 v49, vcc, 0x5000, v1
	v_addc_co_u32_e32 v50, vcc, 0, v2, vcc
	global_load_dwordx2 v[49:50], v[49:50], off offset:3072
.LBB4_55:
	s_or_b64 exec, exec, s[0:1]
	v_or_b32_e32 v51, 0xc00, v0
	v_cmp_gt_u32_e64 s[50:51], s33, v51
                                        ; implicit-def: $vgpr51_vgpr52
	s_and_saveexec_b64 s[0:1], s[50:51]
	s_cbranch_execz .LBB4_57
; %bb.56:
	v_add_co_u32_e32 v51, vcc, 0x6000, v1
	v_addc_co_u32_e32 v52, vcc, 0, v2, vcc
	global_load_dwordx2 v[51:52], v[51:52], off
.LBB4_57:
	s_or_b64 exec, exec, s[0:1]
	v_or_b32_e32 v53, 0xc80, v0
	v_cmp_gt_u32_e64 s[52:53], s33, v53
                                        ; implicit-def: $vgpr53_vgpr54
	s_and_saveexec_b64 s[0:1], s[52:53]
	s_cbranch_execz .LBB4_59
; %bb.58:
	v_add_co_u32_e32 v53, vcc, 0x6000, v1
	v_addc_co_u32_e32 v54, vcc, 0, v2, vcc
	global_load_dwordx2 v[53:54], v[53:54], off offset:1024
.LBB4_59:
	s_or_b64 exec, exec, s[0:1]
	v_or_b32_e32 v55, 0xd00, v0
	v_cmp_gt_u32_e64 s[54:55], s33, v55
                                        ; implicit-def: $vgpr55_vgpr56
	s_and_saveexec_b64 s[0:1], s[54:55]
	s_cbranch_execz .LBB4_61
; %bb.60:
	v_add_co_u32_e32 v55, vcc, 0x6000, v1
	v_addc_co_u32_e32 v56, vcc, 0, v2, vcc
	global_load_dwordx2 v[55:56], v[55:56], off offset:2048
.LBB4_61:
	s_or_b64 exec, exec, s[0:1]
	v_or_b32_e32 v57, 0xd80, v0
	v_cmp_gt_u32_e64 s[56:57], s33, v57
                                        ; implicit-def: $vgpr57_vgpr58
	s_and_saveexec_b64 s[0:1], s[56:57]
	s_cbranch_execz .LBB4_63
; %bb.62:
	v_add_co_u32_e32 v57, vcc, 0x6000, v1
	v_addc_co_u32_e32 v58, vcc, 0, v2, vcc
	global_load_dwordx2 v[57:58], v[57:58], off offset:3072
.LBB4_63:
	s_or_b64 exec, exec, s[0:1]
	v_or_b32_e32 v59, 0xe00, v0
	v_cmp_gt_u32_e64 s[58:59], s33, v59
                                        ; implicit-def: $vgpr59_vgpr60
	s_and_saveexec_b64 s[0:1], s[58:59]
	s_cbranch_execz .LBB4_65
; %bb.64:
	v_add_co_u32_e32 v59, vcc, 0x7000, v1
	v_addc_co_u32_e32 v60, vcc, 0, v2, vcc
	global_load_dwordx2 v[59:60], v[59:60], off
.LBB4_65:
	s_or_b64 exec, exec, s[0:1]
	v_or_b32_e32 v61, 0xe80, v0
	v_cmp_gt_u32_e64 s[60:61], s33, v61
                                        ; implicit-def: $vgpr61_vgpr62
	s_and_saveexec_b64 s[0:1], s[60:61]
	s_cbranch_execz .LBB4_67
; %bb.66:
	v_add_co_u32_e32 v61, vcc, 0x7000, v1
	v_addc_co_u32_e32 v62, vcc, 0, v2, vcc
	global_load_dwordx2 v[61:62], v[61:62], off offset:1024
.LBB4_67:
	s_or_b64 exec, exec, s[0:1]
	v_or_b32_e32 v63, 0xf00, v0
	v_cmp_gt_u32_e64 s[62:63], s33, v63
                                        ; implicit-def: $vgpr63_vgpr64
	s_and_saveexec_b64 s[0:1], s[62:63]
	s_cbranch_execz .LBB4_69
; %bb.68:
	v_add_co_u32_e32 v63, vcc, 0x7000, v1
	v_addc_co_u32_e32 v64, vcc, 0, v2, vcc
	global_load_dwordx2 v[63:64], v[63:64], off offset:2048
.LBB4_69:
	s_or_b64 exec, exec, s[0:1]
	v_or_b32_e32 v65, 0xf80, v0
	v_cmp_gt_u32_e64 s[64:65], s33, v65
                                        ; implicit-def: $vgpr65_vgpr66
	s_and_saveexec_b64 s[0:1], s[64:65]
	s_cbranch_execz .LBB4_71
; %bb.70:
	v_add_co_u32_e32 v65, vcc, 0x7000, v1
	v_addc_co_u32_e32 v66, vcc, 0, v2, vcc
	global_load_dwordx2 v[65:66], v[65:66], off offset:3072
.LBB4_71:
	s_or_b64 exec, exec, s[0:1]
	v_or_b32_e32 v67, 0x1000, v0
	v_cmp_gt_u32_e64 s[66:67], s33, v67
                                        ; implicit-def: $vgpr67_vgpr68
	s_and_saveexec_b64 s[0:1], s[66:67]
	s_cbranch_execz .LBB4_73
; %bb.72:
	v_add_co_u32_e32 v67, vcc, 0x8000, v1
	v_addc_co_u32_e32 v68, vcc, 0, v2, vcc
	global_load_dwordx2 v[67:68], v[67:68], off
.LBB4_73:
	s_or_b64 exec, exec, s[0:1]
	v_or_b32_e32 v69, 0x1080, v0
	v_cmp_gt_u32_e64 s[68:69], s33, v69
                                        ; implicit-def: $vgpr69_vgpr70
	s_and_saveexec_b64 s[0:1], s[68:69]
	s_cbranch_execz .LBB4_75
; %bb.74:
	v_add_co_u32_e32 v69, vcc, 0x8000, v1
	v_addc_co_u32_e32 v70, vcc, 0, v2, vcc
	global_load_dwordx2 v[69:70], v[69:70], off offset:1024
.LBB4_75:
	s_or_b64 exec, exec, s[0:1]
	v_or_b32_e32 v71, 0x1100, v0
	v_cmp_gt_u32_e64 s[70:71], s33, v71
                                        ; implicit-def: $vgpr71_vgpr72
	s_and_saveexec_b64 s[0:1], s[70:71]
	s_cbranch_execz .LBB4_77
; %bb.76:
	v_add_co_u32_e32 v71, vcc, 0x8000, v1
	v_addc_co_u32_e32 v72, vcc, 0, v2, vcc
	global_load_dwordx2 v[71:72], v[71:72], off offset:2048
.LBB4_77:
	s_or_b64 exec, exec, s[0:1]
	v_or_b32_e32 v73, 0x1180, v0
	v_cmp_gt_u32_e64 s[72:73], s33, v73
                                        ; implicit-def: $vgpr73_vgpr74
	s_and_saveexec_b64 s[0:1], s[72:73]
	s_cbranch_execz .LBB4_79
; %bb.78:
	v_add_co_u32_e32 v73, vcc, 0x8000, v1
	v_addc_co_u32_e32 v74, vcc, 0, v2, vcc
	global_load_dwordx2 v[73:74], v[73:74], off offset:3072
.LBB4_79:
	s_or_b64 exec, exec, s[0:1]
	v_or_b32_e32 v75, 0x1200, v0
	v_cmp_gt_u32_e64 s[74:75], s33, v75
                                        ; implicit-def: $vgpr75_vgpr76
	s_and_saveexec_b64 s[0:1], s[74:75]
	s_cbranch_execz .LBB4_81
; %bb.80:
	v_add_co_u32_e32 v75, vcc, 0x9000, v1
	v_addc_co_u32_e32 v76, vcc, 0, v2, vcc
	global_load_dwordx2 v[75:76], v[75:76], off
.LBB4_81:
	s_or_b64 exec, exec, s[0:1]
	v_or_b32_e32 v77, 0x1280, v0
	v_cmp_gt_u32_e64 s[76:77], s33, v77
                                        ; implicit-def: $vgpr77_vgpr78
	s_and_saveexec_b64 s[0:1], s[76:77]
	s_cbranch_execz .LBB4_83
; %bb.82:
	v_add_co_u32_e32 v77, vcc, 0x9000, v1
	v_addc_co_u32_e32 v78, vcc, 0, v2, vcc
	global_load_dwordx2 v[77:78], v[77:78], off offset:1024
.LBB4_83:
	s_or_b64 exec, exec, s[0:1]
	v_or_b32_e32 v79, 0x1300, v0
	v_cmp_gt_u32_e64 s[78:79], s33, v79
                                        ; implicit-def: $vgpr79_vgpr80
	s_and_saveexec_b64 s[0:1], s[78:79]
	s_cbranch_execz .LBB4_85
; %bb.84:
	v_add_co_u32_e32 v79, vcc, 0x9000, v1
	v_addc_co_u32_e32 v80, vcc, 0, v2, vcc
	global_load_dwordx2 v[79:80], v[79:80], off offset:2048
.LBB4_85:
	s_or_b64 exec, exec, s[0:1]
	v_or_b32_e32 v81, 0x1380, v0
	v_cmp_gt_u32_e64 s[80:81], s33, v81
                                        ; implicit-def: $vgpr81_vgpr82
	s_and_saveexec_b64 s[0:1], s[80:81]
	s_cbranch_execz .LBB4_87
; %bb.86:
	v_add_co_u32_e32 v81, vcc, 0x9000, v1
	v_addc_co_u32_e32 v82, vcc, 0, v2, vcc
	global_load_dwordx2 v[81:82], v[81:82], off offset:3072
.LBB4_87:
	s_or_b64 exec, exec, s[0:1]
	v_or_b32_e32 v83, 0x1400, v0
	v_cmp_gt_u32_e64 s[82:83], s33, v83
                                        ; implicit-def: $vgpr83_vgpr84
	s_and_saveexec_b64 s[0:1], s[82:83]
	s_cbranch_execz .LBB4_89
; %bb.88:
	v_add_co_u32_e32 v83, vcc, 0xa000, v1
	v_addc_co_u32_e32 v84, vcc, 0, v2, vcc
	global_load_dwordx2 v[83:84], v[83:84], off
.LBB4_89:
	s_or_b64 exec, exec, s[0:1]
	v_or_b32_e32 v85, 0x1480, v0
	v_cmp_gt_u32_e64 s[84:85], s33, v85
                                        ; implicit-def: $vgpr85_vgpr86
	s_and_saveexec_b64 s[0:1], s[84:85]
	s_cbranch_execz .LBB4_91
; %bb.90:
	v_add_co_u32_e32 v85, vcc, 0xa000, v1
	v_addc_co_u32_e32 v86, vcc, 0, v2, vcc
	global_load_dwordx2 v[85:86], v[85:86], off offset:1024
.LBB4_91:
	s_or_b64 exec, exec, s[0:1]
	v_or_b32_e32 v87, 0x1500, v0
	v_cmp_gt_u32_e64 s[86:87], s33, v87
                                        ; implicit-def: $vgpr87_vgpr88
	s_and_saveexec_b64 s[0:1], s[86:87]
	s_cbranch_execz .LBB4_93
; %bb.92:
	v_add_co_u32_e32 v87, vcc, 0xa000, v1
	v_addc_co_u32_e32 v88, vcc, 0, v2, vcc
	global_load_dwordx2 v[87:88], v[87:88], off offset:2048
.LBB4_93:
	s_or_b64 exec, exec, s[0:1]
	v_or_b32_e32 v89, 0x1580, v0
	v_cmp_gt_u32_e64 s[88:89], s33, v89
                                        ; implicit-def: $vgpr89_vgpr90
	s_and_saveexec_b64 s[0:1], s[88:89]
	s_cbranch_execz .LBB4_95
; %bb.94:
	v_add_co_u32_e32 v89, vcc, 0xa000, v1
	v_addc_co_u32_e32 v90, vcc, 0, v2, vcc
	global_load_dwordx2 v[89:90], v[89:90], off offset:3072
.LBB4_95:
	s_or_b64 exec, exec, s[0:1]
	v_or_b32_e32 v91, 0x1600, v0
	v_cmp_gt_u32_e64 s[90:91], s33, v91
                                        ; implicit-def: $vgpr91_vgpr92
	s_and_saveexec_b64 s[0:1], s[90:91]
	s_cbranch_execz .LBB4_97
; %bb.96:
	v_add_co_u32_e32 v91, vcc, 0xb000, v1
	v_addc_co_u32_e32 v92, vcc, 0, v2, vcc
	global_load_dwordx2 v[91:92], v[91:92], off
.LBB4_97:
	s_or_b64 exec, exec, s[0:1]
	v_or_b32_e32 v93, 0x1680, v0
	v_cmp_gt_u32_e64 s[92:93], s33, v93
                                        ; implicit-def: $vgpr93_vgpr94
	s_and_saveexec_b64 s[0:1], s[92:93]
	s_cbranch_execz .LBB4_99
; %bb.98:
	v_add_co_u32_e32 v93, vcc, 0xb000, v1
	v_addc_co_u32_e32 v94, vcc, 0, v2, vcc
	global_load_dwordx2 v[93:94], v[93:94], off offset:1024
.LBB4_99:
	s_or_b64 exec, exec, s[0:1]
	v_or_b32_e32 v95, 0x1700, v0
	v_cmp_gt_u32_e64 s[94:95], s33, v95
                                        ; implicit-def: $vgpr95_vgpr96
	s_and_saveexec_b64 s[0:1], s[94:95]
	s_cbranch_execz .LBB4_101
; %bb.100:
	v_add_co_u32_e32 v95, vcc, 0xb000, v1
	v_addc_co_u32_e32 v96, vcc, 0, v2, vcc
	global_load_dwordx2 v[95:96], v[95:96], off offset:2048
.LBB4_101:
	s_or_b64 exec, exec, s[0:1]
	v_or_b32_e32 v97, 0x1780, v0
	v_cmp_gt_u32_e64 s[0:1], s33, v97
                                        ; implicit-def: $vgpr97_vgpr98
	s_and_saveexec_b64 s[2:3], s[0:1]
	s_cbranch_execz .LBB4_103
; %bb.102:
	v_add_co_u32_e32 v97, vcc, 0xb000, v1
	v_addc_co_u32_e32 v98, vcc, 0, v2, vcc
	global_load_dwordx2 v[97:98], v[97:98], off offset:3072
.LBB4_103:
	s_or_b64 exec, exec, s[2:3]
	v_or_b32_e32 v99, 0x1800, v0
	v_cmp_gt_u32_e64 s[2:3], s33, v99
                                        ; implicit-def: $vgpr99_vgpr100
	s_and_saveexec_b64 s[4:5], s[2:3]
	s_cbranch_execz .LBB4_105
; %bb.104:
	v_add_co_u32_e32 v99, vcc, 0xc000, v1
	v_addc_co_u32_e32 v100, vcc, 0, v2, vcc
	global_load_dwordx2 v[99:100], v[99:100], off
.LBB4_105:
	s_or_b64 exec, exec, s[4:5]
	v_or_b32_e32 v101, 0x1880, v0
	v_cmp_gt_u32_e64 s[4:5], s33, v101
                                        ; implicit-def: $vgpr101_vgpr102
	s_and_saveexec_b64 s[8:9], s[4:5]
	s_cbranch_execz .LBB4_107
; %bb.106:
	v_add_co_u32_e32 v101, vcc, 0xc000, v1
	v_addc_co_u32_e32 v102, vcc, 0, v2, vcc
	global_load_dwordx2 v[101:102], v[101:102], off offset:1024
.LBB4_107:
	s_or_b64 exec, exec, s[8:9]
	v_or_b32_e32 v103, 0x1900, v0
	v_cmp_gt_u32_e64 s[8:9], s33, v103
                                        ; implicit-def: $vgpr103_vgpr104
	s_and_saveexec_b64 s[10:11], s[8:9]
	s_cbranch_execz .LBB4_109
; %bb.108:
	v_add_co_u32_e32 v103, vcc, 0xc000, v1
	v_addc_co_u32_e32 v104, vcc, 0, v2, vcc
	global_load_dwordx2 v[103:104], v[103:104], off offset:2048
.LBB4_109:
	s_or_b64 exec, exec, s[10:11]
	v_or_b32_e32 v105, 0x1980, v0
	v_cmp_gt_u32_e64 s[10:11], s33, v105
                                        ; implicit-def: $vgpr105_vgpr106
	s_and_saveexec_b64 s[12:13], s[10:11]
	s_cbranch_execz .LBB4_111
; %bb.110:
	v_add_co_u32_e32 v105, vcc, 0xc000, v1
	v_addc_co_u32_e32 v106, vcc, 0, v2, vcc
	global_load_dwordx2 v[105:106], v[105:106], off offset:3072
.LBB4_111:
	s_or_b64 exec, exec, s[12:13]
	v_or_b32_e32 v107, 0x1a00, v0
	v_cmp_gt_u32_e64 s[12:13], s33, v107
                                        ; implicit-def: $vgpr107_vgpr108
	s_and_saveexec_b64 s[14:15], s[12:13]
	s_cbranch_execz .LBB4_113
; %bb.112:
	v_add_co_u32_e32 v107, vcc, 0xd000, v1
	v_addc_co_u32_e32 v108, vcc, 0, v2, vcc
	global_load_dwordx2 v[107:108], v[107:108], off
.LBB4_113:
	s_or_b64 exec, exec, s[14:15]
	v_or_b32_e32 v109, 0x1a80, v0
	v_cmp_gt_u32_e64 s[14:15], s33, v109
                                        ; implicit-def: $vgpr109_vgpr110
	s_and_saveexec_b64 s[16:17], s[14:15]
	s_cbranch_execz .LBB4_115
; %bb.114:
	v_add_co_u32_e32 v109, vcc, 0xd000, v1
	v_addc_co_u32_e32 v110, vcc, 0, v2, vcc
	global_load_dwordx2 v[109:110], v[109:110], off offset:1024
.LBB4_115:
	s_or_b64 exec, exec, s[16:17]
	v_or_b32_e32 v111, 0x1b00, v0
	v_cmp_gt_u32_e64 s[16:17], s33, v111
                                        ; implicit-def: $vgpr111_vgpr112
	s_and_saveexec_b64 s[18:19], s[16:17]
	s_cbranch_execz .LBB4_117
; %bb.116:
	v_add_co_u32_e32 v111, vcc, 0xd000, v1
	v_addc_co_u32_e32 v112, vcc, 0, v2, vcc
	global_load_dwordx2 v[111:112], v[111:112], off offset:2048
.LBB4_117:
	s_or_b64 exec, exec, s[18:19]
	v_or_b32_e32 v113, 0x1b80, v0
	v_cmp_gt_u32_e64 s[18:19], s33, v113
                                        ; implicit-def: $vgpr113_vgpr114
	s_and_saveexec_b64 s[20:21], s[18:19]
	s_cbranch_execz .LBB4_119
; %bb.118:
	v_add_co_u32_e32 v113, vcc, 0xd000, v1
	v_addc_co_u32_e32 v114, vcc, 0, v2, vcc
	global_load_dwordx2 v[113:114], v[113:114], off offset:3072
.LBB4_119:
	s_or_b64 exec, exec, s[20:21]
	v_or_b32_e32 v115, 0x1c00, v0
	v_cmp_gt_u32_e64 s[20:21], s33, v115
                                        ; implicit-def: $vgpr115_vgpr116
	s_and_saveexec_b64 s[22:23], s[20:21]
	s_cbranch_execz .LBB4_121
; %bb.120:
	v_add_co_u32_e32 v115, vcc, 0xe000, v1
	v_addc_co_u32_e32 v116, vcc, 0, v2, vcc
	global_load_dwordx2 v[115:116], v[115:116], off
.LBB4_121:
	s_or_b64 exec, exec, s[22:23]
	v_or_b32_e32 v117, 0x1c80, v0
	v_cmp_gt_u32_e64 s[22:23], s33, v117
                                        ; implicit-def: $vgpr117_vgpr118
	s_and_saveexec_b64 s[24:25], s[22:23]
	s_cbranch_execz .LBB4_123
; %bb.122:
	v_add_co_u32_e32 v117, vcc, 0xe000, v1
	v_addc_co_u32_e32 v118, vcc, 0, v2, vcc
	global_load_dwordx2 v[117:118], v[117:118], off offset:1024
.LBB4_123:
	s_or_b64 exec, exec, s[24:25]
	v_or_b32_e32 v119, 0x1d00, v0
	v_cmp_gt_u32_e64 s[24:25], s33, v119
                                        ; implicit-def: $vgpr119_vgpr120
	s_and_saveexec_b64 s[26:27], s[24:25]
	s_cbranch_execz .LBB4_125
; %bb.124:
	v_add_co_u32_e32 v119, vcc, 0xe000, v1
	v_addc_co_u32_e32 v120, vcc, 0, v2, vcc
	global_load_dwordx2 v[119:120], v[119:120], off offset:2048
.LBB4_125:
	s_or_b64 exec, exec, s[26:27]
	v_or_b32_e32 v121, 0x1d80, v0
	v_cmp_gt_u32_e64 s[26:27], s33, v121
                                        ; implicit-def: $vgpr121_vgpr122
	s_and_saveexec_b64 s[28:29], s[26:27]
	s_cbranch_execz .LBB4_127
; %bb.126:
	v_add_co_u32_e32 v121, vcc, 0xe000, v1
	v_addc_co_u32_e32 v122, vcc, 0, v2, vcc
	global_load_dwordx2 v[121:122], v[121:122], off offset:3072
.LBB4_127:
	s_or_b64 exec, exec, s[28:29]
	v_or_b32_e32 v123, 0x1e00, v0
	v_cmp_gt_u32_e64 s[28:29], s33, v123
                                        ; implicit-def: $vgpr123_vgpr124
	s_and_saveexec_b64 s[30:31], s[28:29]
	s_cbranch_execz .LBB4_129
; %bb.128:
	v_add_co_u32_e32 v123, vcc, 0xf000, v1
	v_addc_co_u32_e32 v124, vcc, 0, v2, vcc
	global_load_dwordx2 v[123:124], v[123:124], off
.LBB4_129:
	s_or_b64 exec, exec, s[30:31]
	v_or_b32_e32 v125, 0x1e80, v0
	v_cmp_gt_u32_e64 s[30:31], s33, v125
                                        ; implicit-def: $vgpr125_vgpr126
	s_and_saveexec_b64 s[34:35], s[30:31]
	s_cbranch_execz .LBB4_131
; %bb.130:
	v_add_co_u32_e32 v125, vcc, 0xf000, v1
	v_addc_co_u32_e32 v126, vcc, 0, v2, vcc
	global_load_dwordx2 v[125:126], v[125:126], off offset:1024
.LBB4_131:
	s_or_b64 exec, exec, s[34:35]
	v_or_b32_e32 v127, 0x1f00, v0
	v_cmp_gt_u32_e64 s[34:35], s33, v127
                                        ; implicit-def: $vgpr127_vgpr128
	s_and_saveexec_b64 s[36:37], s[34:35]
	s_cbranch_execz .LBB4_133
; %bb.132:
	v_add_co_u32_e32 v127, vcc, 0xf000, v1
	v_addc_co_u32_e32 v128, vcc, 0, v2, vcc
	global_load_dwordx2 v[127:128], v[127:128], off offset:2048
.LBB4_133:
	s_or_b64 exec, exec, s[36:37]
	v_or_b32_e32 v129, 0x1f80, v0
	v_cmp_gt_u32_e64 s[36:37], s33, v129
                                        ; implicit-def: $vgpr129_vgpr130
	s_and_saveexec_b64 s[40:41], s[36:37]
	s_cbranch_execz .LBB4_135
; %bb.134:
	v_add_co_u32_e32 v1, vcc, 0xf000, v1
	v_addc_co_u32_e32 v2, vcc, 0, v2, vcc
	global_load_dwordx2 v[129:130], v[1:2], off offset:3072
.LBB4_135:
	s_or_b64 exec, exec, s[40:41]
	s_waitcnt vmcnt(0)
	v_add_f64 v[1:2], v[3:4], v[5:6]
	v_readlane_b32 s40, v132, 0
	v_readlane_b32 s41, v132, 1
	v_mbcnt_hi_u32_b32 v5, -1, v131
	v_cndmask_b32_e64 v2, v4, v2, s[40:41]
	v_cndmask_b32_e64 v1, v3, v1, s[40:41]
	v_add_f64 v[3:4], v[1:2], v[7:8]
	v_readlane_b32 s40, v132, 2
	v_readlane_b32 s41, v132, 3
	v_and_b32_e32 v7, 63, v5
	v_cmp_ne_u32_e32 vcc, 63, v7
	v_addc_co_u32_e32 v6, vcc, 0, v5, vcc
	v_lshlrev_b32_e32 v6, 2, v6
	v_cndmask_b32_e64 v2, v2, v4, s[40:41]
	v_cndmask_b32_e64 v1, v1, v3, s[40:41]
	v_add_f64 v[3:4], v[1:2], v[9:10]
	v_readlane_b32 s40, v132, 4
	v_readlane_b32 s41, v132, 5
	v_add_u32_e32 v8, 1, v5
	v_cndmask_b32_e64 v2, v2, v4, s[40:41]
	v_cndmask_b32_e64 v1, v1, v3, s[40:41]
	v_add_f64 v[3:4], v[1:2], v[11:12]
	v_readlane_b32 s40, v132, 6
	v_readlane_b32 s41, v132, 7
	v_cndmask_b32_e64 v2, v2, v4, s[40:41]
	v_cndmask_b32_e64 v1, v1, v3, s[40:41]
	v_add_f64 v[3:4], v[1:2], v[13:14]
	v_readlane_b32 s40, v132, 8
	v_readlane_b32 s41, v132, 9
	;; [unrolled: 5-line block ×16, first 2 shown]
	v_cndmask_b32_e64 v2, v2, v4, s[40:41]
	v_cndmask_b32_e64 v1, v1, v3, s[40:41]
	v_add_f64 v[3:4], v[1:2], v[43:44]
	v_cndmask_b32_e64 v2, v2, v4, s[38:39]
	v_cndmask_b32_e64 v1, v1, v3, s[38:39]
	v_add_f64 v[3:4], v[1:2], v[45:46]
	v_readlane_b32 s38, v132, 38
	v_readlane_b32 s39, v132, 39
	v_cndmask_b32_e64 v2, v2, v4, s[38:39]
	v_cndmask_b32_e64 v1, v1, v3, s[38:39]
	v_add_f64 v[3:4], v[1:2], v[47:48]
	v_readlane_b32 s38, v132, 40
	v_readlane_b32 s39, v132, 41
	v_cndmask_b32_e64 v2, v2, v4, s[38:39]
	v_cndmask_b32_e64 v1, v1, v3, s[38:39]
	v_add_f64 v[3:4], v[1:2], v[49:50]
	v_cndmask_b32_e64 v2, v2, v4, s[48:49]
	v_cndmask_b32_e64 v1, v1, v3, s[48:49]
	v_add_f64 v[3:4], v[1:2], v[51:52]
	v_cndmask_b32_e64 v2, v2, v4, s[50:51]
	v_cndmask_b32_e64 v1, v1, v3, s[50:51]
	v_add_f64 v[3:4], v[1:2], v[53:54]
	v_cndmask_b32_e64 v2, v2, v4, s[52:53]
	v_cndmask_b32_e64 v1, v1, v3, s[52:53]
	v_add_f64 v[3:4], v[1:2], v[55:56]
	v_cndmask_b32_e64 v2, v2, v4, s[54:55]
	v_cndmask_b32_e64 v1, v1, v3, s[54:55]
	v_add_f64 v[3:4], v[1:2], v[57:58]
	v_cndmask_b32_e64 v2, v2, v4, s[56:57]
	v_cndmask_b32_e64 v1, v1, v3, s[56:57]
	v_add_f64 v[3:4], v[1:2], v[59:60]
	v_cndmask_b32_e64 v2, v2, v4, s[58:59]
	v_cndmask_b32_e64 v1, v1, v3, s[58:59]
	v_add_f64 v[3:4], v[1:2], v[61:62]
	v_cndmask_b32_e64 v2, v2, v4, s[60:61]
	v_cndmask_b32_e64 v1, v1, v3, s[60:61]
	v_add_f64 v[3:4], v[1:2], v[63:64]
	v_cndmask_b32_e64 v2, v2, v4, s[62:63]
	v_cndmask_b32_e64 v1, v1, v3, s[62:63]
	v_add_f64 v[3:4], v[1:2], v[65:66]
	v_cndmask_b32_e64 v2, v2, v4, s[64:65]
	v_cndmask_b32_e64 v1, v1, v3, s[64:65]
	v_add_f64 v[3:4], v[1:2], v[67:68]
	v_cndmask_b32_e64 v2, v2, v4, s[66:67]
	v_cndmask_b32_e64 v1, v1, v3, s[66:67]
	v_add_f64 v[3:4], v[1:2], v[69:70]
	v_cndmask_b32_e64 v2, v2, v4, s[68:69]
	v_cndmask_b32_e64 v1, v1, v3, s[68:69]
	v_add_f64 v[3:4], v[1:2], v[71:72]
	v_cndmask_b32_e64 v2, v2, v4, s[70:71]
	v_cndmask_b32_e64 v1, v1, v3, s[70:71]
	v_add_f64 v[3:4], v[1:2], v[73:74]
	v_cndmask_b32_e64 v2, v2, v4, s[72:73]
	v_cndmask_b32_e64 v1, v1, v3, s[72:73]
	v_add_f64 v[3:4], v[1:2], v[75:76]
	v_cndmask_b32_e64 v2, v2, v4, s[74:75]
	v_cndmask_b32_e64 v1, v1, v3, s[74:75]
	v_add_f64 v[3:4], v[1:2], v[77:78]
	v_cndmask_b32_e64 v2, v2, v4, s[76:77]
	v_cndmask_b32_e64 v1, v1, v3, s[76:77]
	v_add_f64 v[3:4], v[1:2], v[79:80]
	v_cndmask_b32_e64 v2, v2, v4, s[78:79]
	v_cndmask_b32_e64 v1, v1, v3, s[78:79]
	v_add_f64 v[3:4], v[1:2], v[81:82]
	v_cndmask_b32_e64 v2, v2, v4, s[80:81]
	v_cndmask_b32_e64 v1, v1, v3, s[80:81]
	v_add_f64 v[3:4], v[1:2], v[83:84]
	v_cndmask_b32_e64 v2, v2, v4, s[82:83]
	v_cndmask_b32_e64 v1, v1, v3, s[82:83]
	v_add_f64 v[3:4], v[1:2], v[85:86]
	v_cndmask_b32_e64 v2, v2, v4, s[84:85]
	v_cndmask_b32_e64 v1, v1, v3, s[84:85]
	v_add_f64 v[3:4], v[1:2], v[87:88]
	v_cndmask_b32_e64 v2, v2, v4, s[86:87]
	v_cndmask_b32_e64 v1, v1, v3, s[86:87]
	v_add_f64 v[3:4], v[1:2], v[89:90]
	v_cndmask_b32_e64 v2, v2, v4, s[88:89]
	v_cndmask_b32_e64 v1, v1, v3, s[88:89]
	v_add_f64 v[3:4], v[1:2], v[91:92]
	v_cndmask_b32_e64 v2, v2, v4, s[90:91]
	v_cndmask_b32_e64 v1, v1, v3, s[90:91]
	v_add_f64 v[3:4], v[1:2], v[93:94]
	v_cndmask_b32_e64 v2, v2, v4, s[92:93]
	v_cndmask_b32_e64 v1, v1, v3, s[92:93]
	v_add_f64 v[3:4], v[1:2], v[95:96]
	v_cndmask_b32_e64 v2, v2, v4, s[94:95]
	v_cndmask_b32_e64 v1, v1, v3, s[94:95]
	v_add_f64 v[3:4], v[1:2], v[97:98]
	v_cndmask_b32_e64 v2, v2, v4, s[0:1]
	v_cndmask_b32_e64 v1, v1, v3, s[0:1]
	v_add_f64 v[3:4], v[1:2], v[99:100]
	v_cndmask_b32_e64 v2, v2, v4, s[2:3]
	v_cndmask_b32_e64 v1, v1, v3, s[2:3]
	v_add_f64 v[3:4], v[1:2], v[101:102]
	s_min_u32 s2, s33, 0x80
	v_cndmask_b32_e64 v2, v2, v4, s[4:5]
	v_cndmask_b32_e64 v1, v1, v3, s[4:5]
	v_add_f64 v[3:4], v[1:2], v[103:104]
	v_cndmask_b32_e64 v2, v2, v4, s[8:9]
	v_cndmask_b32_e64 v1, v1, v3, s[8:9]
	v_add_f64 v[3:4], v[1:2], v[105:106]
	v_cndmask_b32_e64 v2, v2, v4, s[10:11]
	v_cndmask_b32_e64 v1, v1, v3, s[10:11]
	v_add_f64 v[3:4], v[1:2], v[107:108]
	v_cndmask_b32_e64 v2, v2, v4, s[12:13]
	v_cndmask_b32_e64 v1, v1, v3, s[12:13]
	v_add_f64 v[3:4], v[1:2], v[109:110]
	v_cndmask_b32_e64 v2, v2, v4, s[14:15]
	v_cndmask_b32_e64 v1, v1, v3, s[14:15]
	v_add_f64 v[3:4], v[1:2], v[111:112]
	v_cndmask_b32_e64 v2, v2, v4, s[16:17]
	v_cndmask_b32_e64 v1, v1, v3, s[16:17]
	v_add_f64 v[3:4], v[1:2], v[113:114]
	v_cndmask_b32_e64 v2, v2, v4, s[18:19]
	v_cndmask_b32_e64 v1, v1, v3, s[18:19]
	v_add_f64 v[3:4], v[1:2], v[115:116]
	v_cndmask_b32_e64 v2, v2, v4, s[20:21]
	v_cndmask_b32_e64 v1, v1, v3, s[20:21]
	v_add_f64 v[3:4], v[1:2], v[117:118]
	v_cndmask_b32_e64 v2, v2, v4, s[22:23]
	v_cndmask_b32_e64 v1, v1, v3, s[22:23]
	v_add_f64 v[3:4], v[1:2], v[119:120]
	v_cndmask_b32_e64 v2, v2, v4, s[24:25]
	v_cndmask_b32_e64 v1, v1, v3, s[24:25]
	v_add_f64 v[3:4], v[1:2], v[121:122]
	v_cndmask_b32_e64 v2, v2, v4, s[26:27]
	v_cndmask_b32_e64 v1, v1, v3, s[26:27]
	v_add_f64 v[3:4], v[1:2], v[123:124]
	v_cndmask_b32_e64 v2, v2, v4, s[28:29]
	v_cndmask_b32_e64 v1, v1, v3, s[28:29]
	v_add_f64 v[3:4], v[1:2], v[125:126]
	v_cndmask_b32_e64 v2, v2, v4, s[30:31]
	v_cndmask_b32_e64 v1, v1, v3, s[30:31]
	v_add_f64 v[3:4], v[1:2], v[127:128]
	v_cndmask_b32_e64 v2, v2, v4, s[34:35]
	v_cndmask_b32_e64 v1, v1, v3, s[34:35]
	v_add_f64 v[3:4], v[1:2], v[129:130]
	v_cndmask_b32_e64 v2, v2, v4, s[36:37]
	v_cndmask_b32_e64 v1, v1, v3, s[36:37]
	ds_bpermute_b32 v3, v6, v1
	ds_bpermute_b32 v4, v6, v2
	v_and_b32_e32 v6, 64, v0
	v_sub_u32_e64 v6, s2, v6 clamp
	v_cmp_lt_u32_e32 vcc, v8, v6
	s_and_saveexec_b64 s[0:1], vcc
	s_cbranch_execz .LBB4_137
; %bb.136:
	s_waitcnt lgkmcnt(0)
	v_add_f64 v[1:2], v[1:2], v[3:4]
.LBB4_137:
	s_or_b64 exec, exec, s[0:1]
	v_cmp_gt_u32_e32 vcc, 62, v7
	s_waitcnt lgkmcnt(1)
	v_cndmask_b32_e64 v3, 0, 2, vcc
	s_waitcnt lgkmcnt(0)
	v_add_lshl_u32 v4, v3, v5, 2
	ds_bpermute_b32 v3, v4, v1
	ds_bpermute_b32 v4, v4, v2
	v_add_u32_e32 v8, 2, v5
	v_cmp_lt_u32_e32 vcc, v8, v6
	s_and_saveexec_b64 s[0:1], vcc
	s_cbranch_execz .LBB4_139
; %bb.138:
	s_waitcnt lgkmcnt(0)
	v_add_f64 v[1:2], v[1:2], v[3:4]
.LBB4_139:
	s_or_b64 exec, exec, s[0:1]
	v_cmp_gt_u32_e32 vcc, 60, v7
	s_waitcnt lgkmcnt(1)
	v_cndmask_b32_e64 v3, 0, 4, vcc
	s_waitcnt lgkmcnt(0)
	v_add_lshl_u32 v4, v3, v5, 2
	ds_bpermute_b32 v3, v4, v1
	ds_bpermute_b32 v4, v4, v2
	v_add_u32_e32 v8, 4, v5
	;; [unrolled: 16-line block ×4, first 2 shown]
	v_cmp_lt_u32_e32 vcc, v7, v6
	s_and_saveexec_b64 s[0:1], vcc
	s_cbranch_execz .LBB4_145
; %bb.144:
	s_waitcnt lgkmcnt(0)
	v_add_f64 v[1:2], v[1:2], v[3:4]
.LBB4_145:
	s_or_b64 exec, exec, s[0:1]
	v_lshlrev_b32_e32 v7, 2, v5
	s_waitcnt lgkmcnt(0)
	v_or_b32_e32 v4, 0x80, v7
	ds_bpermute_b32 v3, v4, v1
	ds_bpermute_b32 v4, v4, v2
	v_add_u32_e32 v8, 32, v5
	v_cmp_lt_u32_e32 vcc, v8, v6
	s_waitcnt lgkmcnt(0)
	v_add_f64 v[3:4], v[1:2], v[3:4]
	v_cndmask_b32_e32 v4, v2, v4, vcc
	v_cndmask_b32_e32 v3, v1, v3, vcc
	v_cmp_eq_u32_e32 vcc, 0, v5
	s_and_saveexec_b64 s[0:1], vcc
; %bb.146:
	v_lshrrev_b32_e32 v1, 3, v0
	v_and_b32_e32 v1, 8, v1
	ds_write_b64 v1, v[3:4] offset:16
; %bb.147:
	s_or_b64 exec, exec, s[0:1]
	v_cmp_gt_u32_e32 vcc, 2, v0
	s_waitcnt lgkmcnt(0)
	s_barrier
	s_and_saveexec_b64 s[0:1], vcc
	s_cbranch_execz .LBB4_149
; %bb.148:
	v_lshlrev_b32_e32 v1, 3, v5
	ds_read_b64 v[1:2], v1 offset:16
	v_or_b32_e32 v4, 4, v7
	s_add_i32 s2, s2, 63
	v_and_b32_e32 v5, 1, v5
	s_lshr_b32 s2, s2, 6
	s_waitcnt lgkmcnt(0)
	ds_bpermute_b32 v3, v4, v1
	ds_bpermute_b32 v4, v4, v2
	v_add_u32_e32 v5, 1, v5
	v_cmp_gt_u32_e32 vcc, s2, v5
	s_waitcnt lgkmcnt(0)
	v_add_f64 v[3:4], v[1:2], v[3:4]
	v_cndmask_b32_e32 v4, v2, v4, vcc
	v_cndmask_b32_e32 v3, v1, v3, vcc
.LBB4_149:
	s_or_b64 exec, exec, s[0:1]
.LBB4_150:
	v_cmp_eq_u32_e32 vcc, 0, v0
	s_and_saveexec_b64 s[0:1], vcc
	s_cbranch_execnz .LBB4_152
; %bb.151:
	s_endpgm
.LBB4_152:
	v_add_f64 v[0:1], s[46:47], v[3:4]
	s_lshl_b64 s[0:1], s[6:7], 3
	s_add_u32 s0, s44, s0
	s_addc_u32 s1, s45, s1
	s_cmp_eq_u64 s[42:43], 0
	v_mov_b32_e32 v3, s47
	s_cselect_b64 vcc, -1, 0
	v_mov_b32_e32 v2, 0
	v_cndmask_b32_e32 v1, v1, v3, vcc
	v_mov_b32_e32 v3, s46
	v_cndmask_b32_e32 v0, v0, v3, vcc
	global_store_dwordx2 v2, v[0:1], s[0:1]
	s_endpgm
	.section	.rodata,"a",@progbits
	.p2align	6, 0x0
	.amdhsa_kernel _ZN7rocprim6detail19block_reduce_kernelILb1ELb1ELj16ENS0_21wrapped_reduce_configINS_14default_configEdEEdPdS5_dNS_4plusIdEEEEvT4_mT5_T6_T7_
		.amdhsa_group_segment_fixed_size 32
		.amdhsa_private_segment_fixed_size 0
		.amdhsa_kernarg_size 36
		.amdhsa_user_sgpr_count 6
		.amdhsa_user_sgpr_private_segment_buffer 1
		.amdhsa_user_sgpr_dispatch_ptr 0
		.amdhsa_user_sgpr_queue_ptr 0
		.amdhsa_user_sgpr_kernarg_segment_ptr 1
		.amdhsa_user_sgpr_dispatch_id 0
		.amdhsa_user_sgpr_flat_scratch_init 0
		.amdhsa_user_sgpr_private_segment_size 0
		.amdhsa_uses_dynamic_stack 0
		.amdhsa_system_sgpr_private_segment_wavefront_offset 0
		.amdhsa_system_sgpr_workgroup_id_x 1
		.amdhsa_system_sgpr_workgroup_id_y 0
		.amdhsa_system_sgpr_workgroup_id_z 0
		.amdhsa_system_sgpr_workgroup_info 0
		.amdhsa_system_vgpr_workitem_id 0
		.amdhsa_next_free_vgpr 133
		.amdhsa_next_free_sgpr 96
		.amdhsa_reserve_vcc 1
		.amdhsa_reserve_flat_scratch 0
		.amdhsa_float_round_mode_32 0
		.amdhsa_float_round_mode_16_64 0
		.amdhsa_float_denorm_mode_32 3
		.amdhsa_float_denorm_mode_16_64 3
		.amdhsa_dx10_clamp 1
		.amdhsa_ieee_mode 1
		.amdhsa_fp16_overflow 0
		.amdhsa_exception_fp_ieee_invalid_op 0
		.amdhsa_exception_fp_denorm_src 0
		.amdhsa_exception_fp_ieee_div_zero 0
		.amdhsa_exception_fp_ieee_overflow 0
		.amdhsa_exception_fp_ieee_underflow 0
		.amdhsa_exception_fp_ieee_inexact 0
		.amdhsa_exception_int_div_zero 0
	.end_amdhsa_kernel
	.section	.text._ZN7rocprim6detail19block_reduce_kernelILb1ELb1ELj16ENS0_21wrapped_reduce_configINS_14default_configEdEEdPdS5_dNS_4plusIdEEEEvT4_mT5_T6_T7_,"axG",@progbits,_ZN7rocprim6detail19block_reduce_kernelILb1ELb1ELj16ENS0_21wrapped_reduce_configINS_14default_configEdEEdPdS5_dNS_4plusIdEEEEvT4_mT5_T6_T7_,comdat
.Lfunc_end4:
	.size	_ZN7rocprim6detail19block_reduce_kernelILb1ELb1ELj16ENS0_21wrapped_reduce_configINS_14default_configEdEEdPdS5_dNS_4plusIdEEEEvT4_mT5_T6_T7_, .Lfunc_end4-_ZN7rocprim6detail19block_reduce_kernelILb1ELb1ELj16ENS0_21wrapped_reduce_configINS_14default_configEdEEdPdS5_dNS_4plusIdEEEEvT4_mT5_T6_T7_
                                        ; -- End function
	.set _ZN7rocprim6detail19block_reduce_kernelILb1ELb1ELj16ENS0_21wrapped_reduce_configINS_14default_configEdEEdPdS5_dNS_4plusIdEEEEvT4_mT5_T6_T7_.num_vgpr, 133
	.set _ZN7rocprim6detail19block_reduce_kernelILb1ELb1ELj16ENS0_21wrapped_reduce_configINS_14default_configEdEEdPdS5_dNS_4plusIdEEEEvT4_mT5_T6_T7_.num_agpr, 0
	.set _ZN7rocprim6detail19block_reduce_kernelILb1ELb1ELj16ENS0_21wrapped_reduce_configINS_14default_configEdEEdPdS5_dNS_4plusIdEEEEvT4_mT5_T6_T7_.numbered_sgpr, 96
	.set _ZN7rocprim6detail19block_reduce_kernelILb1ELb1ELj16ENS0_21wrapped_reduce_configINS_14default_configEdEEdPdS5_dNS_4plusIdEEEEvT4_mT5_T6_T7_.num_named_barrier, 0
	.set _ZN7rocprim6detail19block_reduce_kernelILb1ELb1ELj16ENS0_21wrapped_reduce_configINS_14default_configEdEEdPdS5_dNS_4plusIdEEEEvT4_mT5_T6_T7_.private_seg_size, 0
	.set _ZN7rocprim6detail19block_reduce_kernelILb1ELb1ELj16ENS0_21wrapped_reduce_configINS_14default_configEdEEdPdS5_dNS_4plusIdEEEEvT4_mT5_T6_T7_.uses_vcc, 1
	.set _ZN7rocprim6detail19block_reduce_kernelILb1ELb1ELj16ENS0_21wrapped_reduce_configINS_14default_configEdEEdPdS5_dNS_4plusIdEEEEvT4_mT5_T6_T7_.uses_flat_scratch, 0
	.set _ZN7rocprim6detail19block_reduce_kernelILb1ELb1ELj16ENS0_21wrapped_reduce_configINS_14default_configEdEEdPdS5_dNS_4plusIdEEEEvT4_mT5_T6_T7_.has_dyn_sized_stack, 0
	.set _ZN7rocprim6detail19block_reduce_kernelILb1ELb1ELj16ENS0_21wrapped_reduce_configINS_14default_configEdEEdPdS5_dNS_4plusIdEEEEvT4_mT5_T6_T7_.has_recursion, 0
	.set _ZN7rocprim6detail19block_reduce_kernelILb1ELb1ELj16ENS0_21wrapped_reduce_configINS_14default_configEdEEdPdS5_dNS_4plusIdEEEEvT4_mT5_T6_T7_.has_indirect_call, 0
	.section	.AMDGPU.csdata,"",@progbits
; Kernel info:
; codeLenInByte = 7832
; TotalNumSgprs: 100
; NumVgprs: 133
; ScratchSize: 0
; MemoryBound: 0
; FloatMode: 240
; IeeeMode: 1
; LDSByteSize: 32 bytes/workgroup (compile time only)
; SGPRBlocks: 12
; VGPRBlocks: 33
; NumSGPRsForWavesPerEU: 100
; NumVGPRsForWavesPerEU: 133
; Occupancy: 1
; WaveLimiterHint : 1
; COMPUTE_PGM_RSRC2:SCRATCH_EN: 0
; COMPUTE_PGM_RSRC2:USER_SGPR: 6
; COMPUTE_PGM_RSRC2:TRAP_HANDLER: 0
; COMPUTE_PGM_RSRC2:TGID_X_EN: 1
; COMPUTE_PGM_RSRC2:TGID_Y_EN: 0
; COMPUTE_PGM_RSRC2:TGID_Z_EN: 0
; COMPUTE_PGM_RSRC2:TIDIG_COMP_CNT: 0
	.section	.text._ZN7rocprim6detail19block_reduce_kernelILb1ELb0ELj16ENS0_21wrapped_reduce_configINS_14default_configEdEEdPdS5_dNS_4plusIdEEEEvT4_mT5_T6_T7_,"axG",@progbits,_ZN7rocprim6detail19block_reduce_kernelILb1ELb0ELj16ENS0_21wrapped_reduce_configINS_14default_configEdEEdPdS5_dNS_4plusIdEEEEvT4_mT5_T6_T7_,comdat
	.protected	_ZN7rocprim6detail19block_reduce_kernelILb1ELb0ELj16ENS0_21wrapped_reduce_configINS_14default_configEdEEdPdS5_dNS_4plusIdEEEEvT4_mT5_T6_T7_ ; -- Begin function _ZN7rocprim6detail19block_reduce_kernelILb1ELb0ELj16ENS0_21wrapped_reduce_configINS_14default_configEdEEdPdS5_dNS_4plusIdEEEEvT4_mT5_T6_T7_
	.globl	_ZN7rocprim6detail19block_reduce_kernelILb1ELb0ELj16ENS0_21wrapped_reduce_configINS_14default_configEdEEdPdS5_dNS_4plusIdEEEEvT4_mT5_T6_T7_
	.p2align	8
	.type	_ZN7rocprim6detail19block_reduce_kernelILb1ELb0ELj16ENS0_21wrapped_reduce_configINS_14default_configEdEEdPdS5_dNS_4plusIdEEEEvT4_mT5_T6_T7_,@function
_ZN7rocprim6detail19block_reduce_kernelILb1ELb0ELj16ENS0_21wrapped_reduce_configINS_14default_configEdEEdPdS5_dNS_4plusIdEEEEvT4_mT5_T6_T7_: ; @_ZN7rocprim6detail19block_reduce_kernelILb1ELb0ELj16ENS0_21wrapped_reduce_configINS_14default_configEdEEdPdS5_dNS_4plusIdEEEEvT4_mT5_T6_T7_
; %bb.0:
	s_load_dwordx8 s[8:15], s[4:5], 0x0
	s_mov_b32 s1, 0
	s_lshl_b32 s0, s6, 7
	s_mov_b32 s7, s1
	v_mbcnt_lo_u32_b32 v3, -1, 0
	s_waitcnt lgkmcnt(0)
	s_lshr_b64 s[2:3], s[10:11], 7
	s_cmp_lg_u64 s[2:3], s[6:7]
	s_cbranch_scc0 .LBB5_6
; %bb.1:
	s_lshl_b64 s[2:3], s[0:1], 3
	s_add_u32 s2, s8, s2
	s_addc_u32 s3, s9, s3
	v_lshlrev_b32_e32 v1, 3, v0
	global_load_dwordx2 v[1:2], v1, s[2:3]
	s_waitcnt vmcnt(0)
	s_nop 0
	v_mov_b32_dpp v4, v1 quad_perm:[1,0,3,2] row_mask:0xf bank_mask:0xf
	v_mov_b32_dpp v5, v2 quad_perm:[1,0,3,2] row_mask:0xf bank_mask:0xf
	v_add_f64 v[1:2], v[1:2], v[4:5]
	s_nop 1
	v_mov_b32_dpp v4, v1 quad_perm:[2,3,0,1] row_mask:0xf bank_mask:0xf
	v_mov_b32_dpp v5, v2 quad_perm:[2,3,0,1] row_mask:0xf bank_mask:0xf
	v_add_f64 v[1:2], v[1:2], v[4:5]
	s_nop 1
	v_mov_b32_dpp v4, v1 row_ror:4 row_mask:0xf bank_mask:0xf
	v_mov_b32_dpp v5, v2 row_ror:4 row_mask:0xf bank_mask:0xf
	v_add_f64 v[1:2], v[1:2], v[4:5]
	s_nop 1
	v_mov_b32_dpp v4, v1 row_ror:8 row_mask:0xf bank_mask:0xf
	v_mov_b32_dpp v5, v2 row_ror:8 row_mask:0xf bank_mask:0xf
	v_add_f64 v[1:2], v[1:2], v[4:5]
	s_nop 1
	v_mov_b32_dpp v4, v1 row_bcast:15 row_mask:0xf bank_mask:0xf
	v_mov_b32_dpp v5, v2 row_bcast:15 row_mask:0xf bank_mask:0xf
	v_add_f64 v[1:2], v[1:2], v[4:5]
	s_nop 1
	v_mov_b32_dpp v4, v1 row_bcast:31 row_mask:0xf bank_mask:0xf
	v_mov_b32_dpp v5, v2 row_bcast:31 row_mask:0xf bank_mask:0xf
	v_add_f64 v[1:2], v[1:2], v[4:5]
	v_mbcnt_hi_u32_b32 v5, -1, v3
	v_lshlrev_b32_e32 v4, 2, v5
	v_or_b32_e32 v6, 0xfc, v4
	v_cmp_eq_u32_e32 vcc, 0, v5
	ds_bpermute_b32 v1, v6, v1
	ds_bpermute_b32 v2, v6, v2
	s_and_saveexec_b64 s[2:3], vcc
	s_cbranch_execz .LBB5_3
; %bb.2:
	v_lshrrev_b32_e32 v6, 3, v0
	v_and_b32_e32 v6, 8, v6
	s_waitcnt lgkmcnt(0)
	ds_write_b64 v6, v[1:2]
.LBB5_3:
	s_or_b64 exec, exec, s[2:3]
	v_cmp_gt_u32_e32 vcc, 64, v0
	s_waitcnt lgkmcnt(0)
	s_barrier
	s_and_saveexec_b64 s[2:3], vcc
	s_cbranch_execz .LBB5_5
; %bb.4:
	v_and_b32_e32 v1, 1, v5
	v_lshlrev_b32_e32 v1, 3, v1
	ds_read_b64 v[1:2], v1
	v_or_b32_e32 v5, 4, v4
	s_waitcnt lgkmcnt(0)
	ds_bpermute_b32 v4, v5, v1
	ds_bpermute_b32 v5, v5, v2
	s_waitcnt lgkmcnt(0)
	v_add_f64 v[1:2], v[1:2], v[4:5]
.LBB5_5:
	s_or_b64 exec, exec, s[2:3]
	s_branch .LBB5_24
.LBB5_6:
                                        ; implicit-def: $vgpr1_vgpr2
	s_cbranch_execz .LBB5_24
; %bb.7:
	s_sub_i32 s4, s10, s0
	v_cmp_gt_u32_e32 vcc, s4, v0
                                        ; implicit-def: $vgpr1_vgpr2
	s_and_saveexec_b64 s[2:3], vcc
	s_cbranch_execz .LBB5_9
; %bb.8:
	s_lshl_b64 s[0:1], s[0:1], 3
	s_add_u32 s0, s8, s0
	s_addc_u32 s1, s9, s1
	v_lshlrev_b32_e32 v1, 3, v0
	global_load_dwordx2 v[1:2], v1, s[0:1]
.LBB5_9:
	s_or_b64 exec, exec, s[2:3]
	v_mbcnt_hi_u32_b32 v5, -1, v3
	v_and_b32_e32 v7, 63, v5
	v_cmp_ne_u32_e32 vcc, 63, v7
	v_addc_co_u32_e32 v3, vcc, 0, v5, vcc
	v_lshlrev_b32_e32 v4, 2, v3
	s_waitcnt vmcnt(0)
	ds_bpermute_b32 v3, v4, v1
	ds_bpermute_b32 v4, v4, v2
	s_min_u32 s2, s4, 0x80
	v_and_b32_e32 v6, 64, v0
	v_sub_u32_e64 v6, s2, v6 clamp
	v_add_u32_e32 v8, 1, v5
	v_cmp_lt_u32_e32 vcc, v8, v6
	s_and_saveexec_b64 s[0:1], vcc
	s_cbranch_execz .LBB5_11
; %bb.10:
	s_waitcnt lgkmcnt(0)
	v_add_f64 v[1:2], v[1:2], v[3:4]
.LBB5_11:
	s_or_b64 exec, exec, s[0:1]
	v_cmp_gt_u32_e32 vcc, 62, v7
	s_waitcnt lgkmcnt(1)
	v_cndmask_b32_e64 v3, 0, 2, vcc
	s_waitcnt lgkmcnt(0)
	v_add_lshl_u32 v4, v3, v5, 2
	ds_bpermute_b32 v3, v4, v1
	ds_bpermute_b32 v4, v4, v2
	v_add_u32_e32 v8, 2, v5
	v_cmp_lt_u32_e32 vcc, v8, v6
	s_and_saveexec_b64 s[0:1], vcc
	s_cbranch_execz .LBB5_13
; %bb.12:
	s_waitcnt lgkmcnt(0)
	v_add_f64 v[1:2], v[1:2], v[3:4]
.LBB5_13:
	s_or_b64 exec, exec, s[0:1]
	v_cmp_gt_u32_e32 vcc, 60, v7
	s_waitcnt lgkmcnt(1)
	v_cndmask_b32_e64 v3, 0, 4, vcc
	s_waitcnt lgkmcnt(0)
	v_add_lshl_u32 v4, v3, v5, 2
	ds_bpermute_b32 v3, v4, v1
	ds_bpermute_b32 v4, v4, v2
	v_add_u32_e32 v8, 4, v5
	v_cmp_lt_u32_e32 vcc, v8, v6
	s_and_saveexec_b64 s[0:1], vcc
	s_cbranch_execz .LBB5_15
; %bb.14:
	s_waitcnt lgkmcnt(0)
	v_add_f64 v[1:2], v[1:2], v[3:4]
.LBB5_15:
	s_or_b64 exec, exec, s[0:1]
	v_cmp_gt_u32_e32 vcc, 56, v7
	s_waitcnt lgkmcnt(1)
	v_cndmask_b32_e64 v3, 0, 8, vcc
	s_waitcnt lgkmcnt(0)
	v_add_lshl_u32 v4, v3, v5, 2
	ds_bpermute_b32 v3, v4, v1
	ds_bpermute_b32 v4, v4, v2
	v_add_u32_e32 v8, 8, v5
	v_cmp_lt_u32_e32 vcc, v8, v6
	s_and_saveexec_b64 s[0:1], vcc
	s_cbranch_execz .LBB5_17
; %bb.16:
	s_waitcnt lgkmcnt(0)
	v_add_f64 v[1:2], v[1:2], v[3:4]
.LBB5_17:
	s_or_b64 exec, exec, s[0:1]
	v_cmp_gt_u32_e32 vcc, 48, v7
	s_waitcnt lgkmcnt(1)
	v_cndmask_b32_e64 v3, 0, 16, vcc
	s_waitcnt lgkmcnt(0)
	v_add_lshl_u32 v4, v3, v5, 2
	ds_bpermute_b32 v3, v4, v1
	ds_bpermute_b32 v4, v4, v2
	v_add_u32_e32 v7, 16, v5
	v_cmp_lt_u32_e32 vcc, v7, v6
	s_and_saveexec_b64 s[0:1], vcc
	s_cbranch_execz .LBB5_19
; %bb.18:
	s_waitcnt lgkmcnt(0)
	v_add_f64 v[1:2], v[1:2], v[3:4]
.LBB5_19:
	s_or_b64 exec, exec, s[0:1]
	s_waitcnt lgkmcnt(1)
	v_lshlrev_b32_e32 v3, 2, v5
	s_waitcnt lgkmcnt(0)
	v_or_b32_e32 v4, 0x80, v3
	ds_bpermute_b32 v7, v4, v1
	ds_bpermute_b32 v8, v4, v2
	v_add_u32_e32 v4, 32, v5
	v_cmp_lt_u32_e32 vcc, v4, v6
	s_waitcnt lgkmcnt(0)
	v_add_f64 v[7:8], v[1:2], v[7:8]
	v_cndmask_b32_e32 v2, v2, v8, vcc
	v_cndmask_b32_e32 v1, v1, v7, vcc
	v_cmp_eq_u32_e32 vcc, 0, v5
	s_and_saveexec_b64 s[0:1], vcc
; %bb.20:
	v_lshrrev_b32_e32 v4, 3, v0
	v_and_b32_e32 v4, 8, v4
	ds_write_b64 v4, v[1:2] offset:16
; %bb.21:
	s_or_b64 exec, exec, s[0:1]
	v_cmp_gt_u32_e32 vcc, 2, v0
	s_waitcnt lgkmcnt(0)
	s_barrier
	s_and_saveexec_b64 s[0:1], vcc
	s_cbranch_execz .LBB5_23
; %bb.22:
	v_lshlrev_b32_e32 v1, 3, v5
	ds_read_b64 v[1:2], v1 offset:16
	v_or_b32_e32 v4, 4, v3
	s_add_i32 s2, s2, 63
	v_and_b32_e32 v5, 1, v5
	s_lshr_b32 s2, s2, 6
	s_waitcnt lgkmcnt(0)
	ds_bpermute_b32 v3, v4, v1
	ds_bpermute_b32 v4, v4, v2
	v_add_u32_e32 v5, 1, v5
	v_cmp_gt_u32_e32 vcc, s2, v5
	s_waitcnt lgkmcnt(0)
	v_add_f64 v[3:4], v[1:2], v[3:4]
	v_cndmask_b32_e32 v2, v2, v4, vcc
	v_cndmask_b32_e32 v1, v1, v3, vcc
.LBB5_23:
	s_or_b64 exec, exec, s[0:1]
.LBB5_24:
	v_cmp_eq_u32_e32 vcc, 0, v0
	s_and_saveexec_b64 s[0:1], vcc
	s_cbranch_execnz .LBB5_26
; %bb.25:
	s_endpgm
.LBB5_26:
	v_add_f64 v[0:1], s[14:15], v[1:2]
	s_lshl_b64 s[0:1], s[6:7], 3
	s_add_u32 s0, s12, s0
	s_addc_u32 s1, s13, s1
	s_cmp_eq_u64 s[10:11], 0
	v_mov_b32_e32 v3, s15
	s_cselect_b64 vcc, -1, 0
	v_mov_b32_e32 v2, 0
	v_cndmask_b32_e32 v1, v1, v3, vcc
	v_mov_b32_e32 v3, s14
	v_cndmask_b32_e32 v0, v0, v3, vcc
	global_store_dwordx2 v2, v[0:1], s[0:1]
	s_endpgm
	.section	.rodata,"a",@progbits
	.p2align	6, 0x0
	.amdhsa_kernel _ZN7rocprim6detail19block_reduce_kernelILb1ELb0ELj16ENS0_21wrapped_reduce_configINS_14default_configEdEEdPdS5_dNS_4plusIdEEEEvT4_mT5_T6_T7_
		.amdhsa_group_segment_fixed_size 32
		.amdhsa_private_segment_fixed_size 0
		.amdhsa_kernarg_size 36
		.amdhsa_user_sgpr_count 6
		.amdhsa_user_sgpr_private_segment_buffer 1
		.amdhsa_user_sgpr_dispatch_ptr 0
		.amdhsa_user_sgpr_queue_ptr 0
		.amdhsa_user_sgpr_kernarg_segment_ptr 1
		.amdhsa_user_sgpr_dispatch_id 0
		.amdhsa_user_sgpr_flat_scratch_init 0
		.amdhsa_user_sgpr_private_segment_size 0
		.amdhsa_uses_dynamic_stack 0
		.amdhsa_system_sgpr_private_segment_wavefront_offset 0
		.amdhsa_system_sgpr_workgroup_id_x 1
		.amdhsa_system_sgpr_workgroup_id_y 0
		.amdhsa_system_sgpr_workgroup_id_z 0
		.amdhsa_system_sgpr_workgroup_info 0
		.amdhsa_system_vgpr_workitem_id 0
		.amdhsa_next_free_vgpr 9
		.amdhsa_next_free_sgpr 16
		.amdhsa_reserve_vcc 1
		.amdhsa_reserve_flat_scratch 0
		.amdhsa_float_round_mode_32 0
		.amdhsa_float_round_mode_16_64 0
		.amdhsa_float_denorm_mode_32 3
		.amdhsa_float_denorm_mode_16_64 3
		.amdhsa_dx10_clamp 1
		.amdhsa_ieee_mode 1
		.amdhsa_fp16_overflow 0
		.amdhsa_exception_fp_ieee_invalid_op 0
		.amdhsa_exception_fp_denorm_src 0
		.amdhsa_exception_fp_ieee_div_zero 0
		.amdhsa_exception_fp_ieee_overflow 0
		.amdhsa_exception_fp_ieee_underflow 0
		.amdhsa_exception_fp_ieee_inexact 0
		.amdhsa_exception_int_div_zero 0
	.end_amdhsa_kernel
	.section	.text._ZN7rocprim6detail19block_reduce_kernelILb1ELb0ELj16ENS0_21wrapped_reduce_configINS_14default_configEdEEdPdS5_dNS_4plusIdEEEEvT4_mT5_T6_T7_,"axG",@progbits,_ZN7rocprim6detail19block_reduce_kernelILb1ELb0ELj16ENS0_21wrapped_reduce_configINS_14default_configEdEEdPdS5_dNS_4plusIdEEEEvT4_mT5_T6_T7_,comdat
.Lfunc_end5:
	.size	_ZN7rocprim6detail19block_reduce_kernelILb1ELb0ELj16ENS0_21wrapped_reduce_configINS_14default_configEdEEdPdS5_dNS_4plusIdEEEEvT4_mT5_T6_T7_, .Lfunc_end5-_ZN7rocprim6detail19block_reduce_kernelILb1ELb0ELj16ENS0_21wrapped_reduce_configINS_14default_configEdEEdPdS5_dNS_4plusIdEEEEvT4_mT5_T6_T7_
                                        ; -- End function
	.set _ZN7rocprim6detail19block_reduce_kernelILb1ELb0ELj16ENS0_21wrapped_reduce_configINS_14default_configEdEEdPdS5_dNS_4plusIdEEEEvT4_mT5_T6_T7_.num_vgpr, 9
	.set _ZN7rocprim6detail19block_reduce_kernelILb1ELb0ELj16ENS0_21wrapped_reduce_configINS_14default_configEdEEdPdS5_dNS_4plusIdEEEEvT4_mT5_T6_T7_.num_agpr, 0
	.set _ZN7rocprim6detail19block_reduce_kernelILb1ELb0ELj16ENS0_21wrapped_reduce_configINS_14default_configEdEEdPdS5_dNS_4plusIdEEEEvT4_mT5_T6_T7_.numbered_sgpr, 16
	.set _ZN7rocprim6detail19block_reduce_kernelILb1ELb0ELj16ENS0_21wrapped_reduce_configINS_14default_configEdEEdPdS5_dNS_4plusIdEEEEvT4_mT5_T6_T7_.num_named_barrier, 0
	.set _ZN7rocprim6detail19block_reduce_kernelILb1ELb0ELj16ENS0_21wrapped_reduce_configINS_14default_configEdEEdPdS5_dNS_4plusIdEEEEvT4_mT5_T6_T7_.private_seg_size, 0
	.set _ZN7rocprim6detail19block_reduce_kernelILb1ELb0ELj16ENS0_21wrapped_reduce_configINS_14default_configEdEEdPdS5_dNS_4plusIdEEEEvT4_mT5_T6_T7_.uses_vcc, 1
	.set _ZN7rocprim6detail19block_reduce_kernelILb1ELb0ELj16ENS0_21wrapped_reduce_configINS_14default_configEdEEdPdS5_dNS_4plusIdEEEEvT4_mT5_T6_T7_.uses_flat_scratch, 0
	.set _ZN7rocprim6detail19block_reduce_kernelILb1ELb0ELj16ENS0_21wrapped_reduce_configINS_14default_configEdEEdPdS5_dNS_4plusIdEEEEvT4_mT5_T6_T7_.has_dyn_sized_stack, 0
	.set _ZN7rocprim6detail19block_reduce_kernelILb1ELb0ELj16ENS0_21wrapped_reduce_configINS_14default_configEdEEdPdS5_dNS_4plusIdEEEEvT4_mT5_T6_T7_.has_recursion, 0
	.set _ZN7rocprim6detail19block_reduce_kernelILb1ELb0ELj16ENS0_21wrapped_reduce_configINS_14default_configEdEEdPdS5_dNS_4plusIdEEEEvT4_mT5_T6_T7_.has_indirect_call, 0
	.section	.AMDGPU.csdata,"",@progbits
; Kernel info:
; codeLenInByte = 1108
; TotalNumSgprs: 20
; NumVgprs: 9
; ScratchSize: 0
; MemoryBound: 0
; FloatMode: 240
; IeeeMode: 1
; LDSByteSize: 32 bytes/workgroup (compile time only)
; SGPRBlocks: 2
; VGPRBlocks: 2
; NumSGPRsForWavesPerEU: 20
; NumVGPRsForWavesPerEU: 9
; Occupancy: 10
; WaveLimiterHint : 0
; COMPUTE_PGM_RSRC2:SCRATCH_EN: 0
; COMPUTE_PGM_RSRC2:USER_SGPR: 6
; COMPUTE_PGM_RSRC2:TRAP_HANDLER: 0
; COMPUTE_PGM_RSRC2:TGID_X_EN: 1
; COMPUTE_PGM_RSRC2:TGID_Y_EN: 0
; COMPUTE_PGM_RSRC2:TGID_Z_EN: 0
; COMPUTE_PGM_RSRC2:TIDIG_COMP_CNT: 0
	.section	.text._ZN7rocprim6detail19block_reduce_kernelILb1ELb0ELj8ENS0_21wrapped_reduce_configINS_14default_configEdEEdPdS5_dNS_4plusIdEEEEvT4_mT5_T6_T7_,"axG",@progbits,_ZN7rocprim6detail19block_reduce_kernelILb1ELb0ELj8ENS0_21wrapped_reduce_configINS_14default_configEdEEdPdS5_dNS_4plusIdEEEEvT4_mT5_T6_T7_,comdat
	.protected	_ZN7rocprim6detail19block_reduce_kernelILb1ELb0ELj8ENS0_21wrapped_reduce_configINS_14default_configEdEEdPdS5_dNS_4plusIdEEEEvT4_mT5_T6_T7_ ; -- Begin function _ZN7rocprim6detail19block_reduce_kernelILb1ELb0ELj8ENS0_21wrapped_reduce_configINS_14default_configEdEEdPdS5_dNS_4plusIdEEEEvT4_mT5_T6_T7_
	.globl	_ZN7rocprim6detail19block_reduce_kernelILb1ELb0ELj8ENS0_21wrapped_reduce_configINS_14default_configEdEEdPdS5_dNS_4plusIdEEEEvT4_mT5_T6_T7_
	.p2align	8
	.type	_ZN7rocprim6detail19block_reduce_kernelILb1ELb0ELj8ENS0_21wrapped_reduce_configINS_14default_configEdEEdPdS5_dNS_4plusIdEEEEvT4_mT5_T6_T7_,@function
_ZN7rocprim6detail19block_reduce_kernelILb1ELb0ELj8ENS0_21wrapped_reduce_configINS_14default_configEdEEdPdS5_dNS_4plusIdEEEEvT4_mT5_T6_T7_: ; @_ZN7rocprim6detail19block_reduce_kernelILb1ELb0ELj8ENS0_21wrapped_reduce_configINS_14default_configEdEEdPdS5_dNS_4plusIdEEEEvT4_mT5_T6_T7_
; %bb.0:
	s_load_dwordx8 s[8:15], s[4:5], 0x0
	s_mov_b32 s1, 0
	s_lshl_b32 s0, s6, 7
	s_mov_b32 s7, s1
	v_mbcnt_lo_u32_b32 v3, -1, 0
	s_waitcnt lgkmcnt(0)
	s_lshr_b64 s[2:3], s[10:11], 7
	s_cmp_lg_u64 s[2:3], s[6:7]
	s_cbranch_scc0 .LBB6_6
; %bb.1:
	s_lshl_b64 s[2:3], s[0:1], 3
	s_add_u32 s2, s8, s2
	s_addc_u32 s3, s9, s3
	v_lshlrev_b32_e32 v1, 3, v0
	global_load_dwordx2 v[1:2], v1, s[2:3]
	s_waitcnt vmcnt(0)
	s_nop 0
	v_mov_b32_dpp v4, v1 quad_perm:[1,0,3,2] row_mask:0xf bank_mask:0xf
	v_mov_b32_dpp v5, v2 quad_perm:[1,0,3,2] row_mask:0xf bank_mask:0xf
	v_add_f64 v[1:2], v[1:2], v[4:5]
	s_nop 1
	v_mov_b32_dpp v4, v1 quad_perm:[2,3,0,1] row_mask:0xf bank_mask:0xf
	v_mov_b32_dpp v5, v2 quad_perm:[2,3,0,1] row_mask:0xf bank_mask:0xf
	v_add_f64 v[1:2], v[1:2], v[4:5]
	s_nop 1
	v_mov_b32_dpp v4, v1 row_ror:4 row_mask:0xf bank_mask:0xf
	v_mov_b32_dpp v5, v2 row_ror:4 row_mask:0xf bank_mask:0xf
	v_add_f64 v[1:2], v[1:2], v[4:5]
	s_nop 1
	v_mov_b32_dpp v4, v1 row_ror:8 row_mask:0xf bank_mask:0xf
	v_mov_b32_dpp v5, v2 row_ror:8 row_mask:0xf bank_mask:0xf
	v_add_f64 v[1:2], v[1:2], v[4:5]
	s_nop 1
	v_mov_b32_dpp v4, v1 row_bcast:15 row_mask:0xf bank_mask:0xf
	v_mov_b32_dpp v5, v2 row_bcast:15 row_mask:0xf bank_mask:0xf
	v_add_f64 v[1:2], v[1:2], v[4:5]
	s_nop 1
	v_mov_b32_dpp v4, v1 row_bcast:31 row_mask:0xf bank_mask:0xf
	v_mov_b32_dpp v5, v2 row_bcast:31 row_mask:0xf bank_mask:0xf
	v_add_f64 v[1:2], v[1:2], v[4:5]
	v_mbcnt_hi_u32_b32 v5, -1, v3
	v_lshlrev_b32_e32 v4, 2, v5
	v_or_b32_e32 v6, 0xfc, v4
	v_cmp_eq_u32_e32 vcc, 0, v5
	ds_bpermute_b32 v1, v6, v1
	ds_bpermute_b32 v2, v6, v2
	s_and_saveexec_b64 s[2:3], vcc
	s_cbranch_execz .LBB6_3
; %bb.2:
	v_lshrrev_b32_e32 v6, 3, v0
	v_and_b32_e32 v6, 8, v6
	s_waitcnt lgkmcnt(0)
	ds_write_b64 v6, v[1:2]
.LBB6_3:
	s_or_b64 exec, exec, s[2:3]
	v_cmp_gt_u32_e32 vcc, 64, v0
	s_waitcnt lgkmcnt(0)
	s_barrier
	s_and_saveexec_b64 s[2:3], vcc
	s_cbranch_execz .LBB6_5
; %bb.4:
	v_and_b32_e32 v1, 1, v5
	v_lshlrev_b32_e32 v1, 3, v1
	ds_read_b64 v[1:2], v1
	v_or_b32_e32 v5, 4, v4
	s_waitcnt lgkmcnt(0)
	ds_bpermute_b32 v4, v5, v1
	ds_bpermute_b32 v5, v5, v2
	s_waitcnt lgkmcnt(0)
	v_add_f64 v[1:2], v[1:2], v[4:5]
.LBB6_5:
	s_or_b64 exec, exec, s[2:3]
	s_branch .LBB6_24
.LBB6_6:
                                        ; implicit-def: $vgpr1_vgpr2
	s_cbranch_execz .LBB6_24
; %bb.7:
	s_sub_i32 s4, s10, s0
	v_cmp_gt_u32_e32 vcc, s4, v0
                                        ; implicit-def: $vgpr1_vgpr2
	s_and_saveexec_b64 s[2:3], vcc
	s_cbranch_execz .LBB6_9
; %bb.8:
	s_lshl_b64 s[0:1], s[0:1], 3
	s_add_u32 s0, s8, s0
	s_addc_u32 s1, s9, s1
	v_lshlrev_b32_e32 v1, 3, v0
	global_load_dwordx2 v[1:2], v1, s[0:1]
.LBB6_9:
	s_or_b64 exec, exec, s[2:3]
	v_mbcnt_hi_u32_b32 v5, -1, v3
	v_and_b32_e32 v7, 63, v5
	v_cmp_ne_u32_e32 vcc, 63, v7
	v_addc_co_u32_e32 v3, vcc, 0, v5, vcc
	v_lshlrev_b32_e32 v4, 2, v3
	s_waitcnt vmcnt(0)
	ds_bpermute_b32 v3, v4, v1
	ds_bpermute_b32 v4, v4, v2
	s_min_u32 s2, s4, 0x80
	v_and_b32_e32 v6, 64, v0
	v_sub_u32_e64 v6, s2, v6 clamp
	v_add_u32_e32 v8, 1, v5
	v_cmp_lt_u32_e32 vcc, v8, v6
	s_and_saveexec_b64 s[0:1], vcc
	s_cbranch_execz .LBB6_11
; %bb.10:
	s_waitcnt lgkmcnt(0)
	v_add_f64 v[1:2], v[1:2], v[3:4]
.LBB6_11:
	s_or_b64 exec, exec, s[0:1]
	v_cmp_gt_u32_e32 vcc, 62, v7
	s_waitcnt lgkmcnt(1)
	v_cndmask_b32_e64 v3, 0, 2, vcc
	s_waitcnt lgkmcnt(0)
	v_add_lshl_u32 v4, v3, v5, 2
	ds_bpermute_b32 v3, v4, v1
	ds_bpermute_b32 v4, v4, v2
	v_add_u32_e32 v8, 2, v5
	v_cmp_lt_u32_e32 vcc, v8, v6
	s_and_saveexec_b64 s[0:1], vcc
	s_cbranch_execz .LBB6_13
; %bb.12:
	s_waitcnt lgkmcnt(0)
	v_add_f64 v[1:2], v[1:2], v[3:4]
.LBB6_13:
	s_or_b64 exec, exec, s[0:1]
	v_cmp_gt_u32_e32 vcc, 60, v7
	s_waitcnt lgkmcnt(1)
	v_cndmask_b32_e64 v3, 0, 4, vcc
	s_waitcnt lgkmcnt(0)
	v_add_lshl_u32 v4, v3, v5, 2
	ds_bpermute_b32 v3, v4, v1
	ds_bpermute_b32 v4, v4, v2
	;; [unrolled: 16-line block ×4, first 2 shown]
	v_add_u32_e32 v7, 16, v5
	v_cmp_lt_u32_e32 vcc, v7, v6
	s_and_saveexec_b64 s[0:1], vcc
	s_cbranch_execz .LBB6_19
; %bb.18:
	s_waitcnt lgkmcnt(0)
	v_add_f64 v[1:2], v[1:2], v[3:4]
.LBB6_19:
	s_or_b64 exec, exec, s[0:1]
	s_waitcnt lgkmcnt(1)
	v_lshlrev_b32_e32 v3, 2, v5
	s_waitcnt lgkmcnt(0)
	v_or_b32_e32 v4, 0x80, v3
	ds_bpermute_b32 v7, v4, v1
	ds_bpermute_b32 v8, v4, v2
	v_add_u32_e32 v4, 32, v5
	v_cmp_lt_u32_e32 vcc, v4, v6
	s_waitcnt lgkmcnt(0)
	v_add_f64 v[7:8], v[1:2], v[7:8]
	v_cndmask_b32_e32 v2, v2, v8, vcc
	v_cndmask_b32_e32 v1, v1, v7, vcc
	v_cmp_eq_u32_e32 vcc, 0, v5
	s_and_saveexec_b64 s[0:1], vcc
; %bb.20:
	v_lshrrev_b32_e32 v4, 3, v0
	v_and_b32_e32 v4, 8, v4
	ds_write_b64 v4, v[1:2] offset:16
; %bb.21:
	s_or_b64 exec, exec, s[0:1]
	v_cmp_gt_u32_e32 vcc, 2, v0
	s_waitcnt lgkmcnt(0)
	s_barrier
	s_and_saveexec_b64 s[0:1], vcc
	s_cbranch_execz .LBB6_23
; %bb.22:
	v_lshlrev_b32_e32 v1, 3, v5
	ds_read_b64 v[1:2], v1 offset:16
	v_or_b32_e32 v4, 4, v3
	s_add_i32 s2, s2, 63
	v_and_b32_e32 v5, 1, v5
	s_lshr_b32 s2, s2, 6
	s_waitcnt lgkmcnt(0)
	ds_bpermute_b32 v3, v4, v1
	ds_bpermute_b32 v4, v4, v2
	v_add_u32_e32 v5, 1, v5
	v_cmp_gt_u32_e32 vcc, s2, v5
	s_waitcnt lgkmcnt(0)
	v_add_f64 v[3:4], v[1:2], v[3:4]
	v_cndmask_b32_e32 v2, v2, v4, vcc
	v_cndmask_b32_e32 v1, v1, v3, vcc
.LBB6_23:
	s_or_b64 exec, exec, s[0:1]
.LBB6_24:
	v_cmp_eq_u32_e32 vcc, 0, v0
	s_and_saveexec_b64 s[0:1], vcc
	s_cbranch_execnz .LBB6_26
; %bb.25:
	s_endpgm
.LBB6_26:
	v_add_f64 v[0:1], s[14:15], v[1:2]
	s_lshl_b64 s[0:1], s[6:7], 3
	s_add_u32 s0, s12, s0
	s_addc_u32 s1, s13, s1
	s_cmp_eq_u64 s[10:11], 0
	v_mov_b32_e32 v3, s15
	s_cselect_b64 vcc, -1, 0
	v_mov_b32_e32 v2, 0
	v_cndmask_b32_e32 v1, v1, v3, vcc
	v_mov_b32_e32 v3, s14
	v_cndmask_b32_e32 v0, v0, v3, vcc
	global_store_dwordx2 v2, v[0:1], s[0:1]
	s_endpgm
	.section	.rodata,"a",@progbits
	.p2align	6, 0x0
	.amdhsa_kernel _ZN7rocprim6detail19block_reduce_kernelILb1ELb0ELj8ENS0_21wrapped_reduce_configINS_14default_configEdEEdPdS5_dNS_4plusIdEEEEvT4_mT5_T6_T7_
		.amdhsa_group_segment_fixed_size 32
		.amdhsa_private_segment_fixed_size 0
		.amdhsa_kernarg_size 36
		.amdhsa_user_sgpr_count 6
		.amdhsa_user_sgpr_private_segment_buffer 1
		.amdhsa_user_sgpr_dispatch_ptr 0
		.amdhsa_user_sgpr_queue_ptr 0
		.amdhsa_user_sgpr_kernarg_segment_ptr 1
		.amdhsa_user_sgpr_dispatch_id 0
		.amdhsa_user_sgpr_flat_scratch_init 0
		.amdhsa_user_sgpr_private_segment_size 0
		.amdhsa_uses_dynamic_stack 0
		.amdhsa_system_sgpr_private_segment_wavefront_offset 0
		.amdhsa_system_sgpr_workgroup_id_x 1
		.amdhsa_system_sgpr_workgroup_id_y 0
		.amdhsa_system_sgpr_workgroup_id_z 0
		.amdhsa_system_sgpr_workgroup_info 0
		.amdhsa_system_vgpr_workitem_id 0
		.amdhsa_next_free_vgpr 9
		.amdhsa_next_free_sgpr 16
		.amdhsa_reserve_vcc 1
		.amdhsa_reserve_flat_scratch 0
		.amdhsa_float_round_mode_32 0
		.amdhsa_float_round_mode_16_64 0
		.amdhsa_float_denorm_mode_32 3
		.amdhsa_float_denorm_mode_16_64 3
		.amdhsa_dx10_clamp 1
		.amdhsa_ieee_mode 1
		.amdhsa_fp16_overflow 0
		.amdhsa_exception_fp_ieee_invalid_op 0
		.amdhsa_exception_fp_denorm_src 0
		.amdhsa_exception_fp_ieee_div_zero 0
		.amdhsa_exception_fp_ieee_overflow 0
		.amdhsa_exception_fp_ieee_underflow 0
		.amdhsa_exception_fp_ieee_inexact 0
		.amdhsa_exception_int_div_zero 0
	.end_amdhsa_kernel
	.section	.text._ZN7rocprim6detail19block_reduce_kernelILb1ELb0ELj8ENS0_21wrapped_reduce_configINS_14default_configEdEEdPdS5_dNS_4plusIdEEEEvT4_mT5_T6_T7_,"axG",@progbits,_ZN7rocprim6detail19block_reduce_kernelILb1ELb0ELj8ENS0_21wrapped_reduce_configINS_14default_configEdEEdPdS5_dNS_4plusIdEEEEvT4_mT5_T6_T7_,comdat
.Lfunc_end6:
	.size	_ZN7rocprim6detail19block_reduce_kernelILb1ELb0ELj8ENS0_21wrapped_reduce_configINS_14default_configEdEEdPdS5_dNS_4plusIdEEEEvT4_mT5_T6_T7_, .Lfunc_end6-_ZN7rocprim6detail19block_reduce_kernelILb1ELb0ELj8ENS0_21wrapped_reduce_configINS_14default_configEdEEdPdS5_dNS_4plusIdEEEEvT4_mT5_T6_T7_
                                        ; -- End function
	.set _ZN7rocprim6detail19block_reduce_kernelILb1ELb0ELj8ENS0_21wrapped_reduce_configINS_14default_configEdEEdPdS5_dNS_4plusIdEEEEvT4_mT5_T6_T7_.num_vgpr, 9
	.set _ZN7rocprim6detail19block_reduce_kernelILb1ELb0ELj8ENS0_21wrapped_reduce_configINS_14default_configEdEEdPdS5_dNS_4plusIdEEEEvT4_mT5_T6_T7_.num_agpr, 0
	.set _ZN7rocprim6detail19block_reduce_kernelILb1ELb0ELj8ENS0_21wrapped_reduce_configINS_14default_configEdEEdPdS5_dNS_4plusIdEEEEvT4_mT5_T6_T7_.numbered_sgpr, 16
	.set _ZN7rocprim6detail19block_reduce_kernelILb1ELb0ELj8ENS0_21wrapped_reduce_configINS_14default_configEdEEdPdS5_dNS_4plusIdEEEEvT4_mT5_T6_T7_.num_named_barrier, 0
	.set _ZN7rocprim6detail19block_reduce_kernelILb1ELb0ELj8ENS0_21wrapped_reduce_configINS_14default_configEdEEdPdS5_dNS_4plusIdEEEEvT4_mT5_T6_T7_.private_seg_size, 0
	.set _ZN7rocprim6detail19block_reduce_kernelILb1ELb0ELj8ENS0_21wrapped_reduce_configINS_14default_configEdEEdPdS5_dNS_4plusIdEEEEvT4_mT5_T6_T7_.uses_vcc, 1
	.set _ZN7rocprim6detail19block_reduce_kernelILb1ELb0ELj8ENS0_21wrapped_reduce_configINS_14default_configEdEEdPdS5_dNS_4plusIdEEEEvT4_mT5_T6_T7_.uses_flat_scratch, 0
	.set _ZN7rocprim6detail19block_reduce_kernelILb1ELb0ELj8ENS0_21wrapped_reduce_configINS_14default_configEdEEdPdS5_dNS_4plusIdEEEEvT4_mT5_T6_T7_.has_dyn_sized_stack, 0
	.set _ZN7rocprim6detail19block_reduce_kernelILb1ELb0ELj8ENS0_21wrapped_reduce_configINS_14default_configEdEEdPdS5_dNS_4plusIdEEEEvT4_mT5_T6_T7_.has_recursion, 0
	.set _ZN7rocprim6detail19block_reduce_kernelILb1ELb0ELj8ENS0_21wrapped_reduce_configINS_14default_configEdEEdPdS5_dNS_4plusIdEEEEvT4_mT5_T6_T7_.has_indirect_call, 0
	.section	.AMDGPU.csdata,"",@progbits
; Kernel info:
; codeLenInByte = 1108
; TotalNumSgprs: 20
; NumVgprs: 9
; ScratchSize: 0
; MemoryBound: 0
; FloatMode: 240
; IeeeMode: 1
; LDSByteSize: 32 bytes/workgroup (compile time only)
; SGPRBlocks: 2
; VGPRBlocks: 2
; NumSGPRsForWavesPerEU: 20
; NumVGPRsForWavesPerEU: 9
; Occupancy: 10
; WaveLimiterHint : 0
; COMPUTE_PGM_RSRC2:SCRATCH_EN: 0
; COMPUTE_PGM_RSRC2:USER_SGPR: 6
; COMPUTE_PGM_RSRC2:TRAP_HANDLER: 0
; COMPUTE_PGM_RSRC2:TGID_X_EN: 1
; COMPUTE_PGM_RSRC2:TGID_Y_EN: 0
; COMPUTE_PGM_RSRC2:TGID_Z_EN: 0
; COMPUTE_PGM_RSRC2:TIDIG_COMP_CNT: 0
	.section	.text._ZN7rocprim6detail19block_reduce_kernelILb1ELb0ELj4ENS0_21wrapped_reduce_configINS_14default_configEdEEdPdS5_dNS_4plusIdEEEEvT4_mT5_T6_T7_,"axG",@progbits,_ZN7rocprim6detail19block_reduce_kernelILb1ELb0ELj4ENS0_21wrapped_reduce_configINS_14default_configEdEEdPdS5_dNS_4plusIdEEEEvT4_mT5_T6_T7_,comdat
	.protected	_ZN7rocprim6detail19block_reduce_kernelILb1ELb0ELj4ENS0_21wrapped_reduce_configINS_14default_configEdEEdPdS5_dNS_4plusIdEEEEvT4_mT5_T6_T7_ ; -- Begin function _ZN7rocprim6detail19block_reduce_kernelILb1ELb0ELj4ENS0_21wrapped_reduce_configINS_14default_configEdEEdPdS5_dNS_4plusIdEEEEvT4_mT5_T6_T7_
	.globl	_ZN7rocprim6detail19block_reduce_kernelILb1ELb0ELj4ENS0_21wrapped_reduce_configINS_14default_configEdEEdPdS5_dNS_4plusIdEEEEvT4_mT5_T6_T7_
	.p2align	8
	.type	_ZN7rocprim6detail19block_reduce_kernelILb1ELb0ELj4ENS0_21wrapped_reduce_configINS_14default_configEdEEdPdS5_dNS_4plusIdEEEEvT4_mT5_T6_T7_,@function
_ZN7rocprim6detail19block_reduce_kernelILb1ELb0ELj4ENS0_21wrapped_reduce_configINS_14default_configEdEEdPdS5_dNS_4plusIdEEEEvT4_mT5_T6_T7_: ; @_ZN7rocprim6detail19block_reduce_kernelILb1ELb0ELj4ENS0_21wrapped_reduce_configINS_14default_configEdEEdPdS5_dNS_4plusIdEEEEvT4_mT5_T6_T7_
; %bb.0:
	s_load_dwordx8 s[8:15], s[4:5], 0x0
	s_mov_b32 s1, 0
	s_lshl_b32 s0, s6, 7
	s_mov_b32 s7, s1
	v_mbcnt_lo_u32_b32 v3, -1, 0
	s_waitcnt lgkmcnt(0)
	s_lshr_b64 s[2:3], s[10:11], 7
	s_cmp_lg_u64 s[2:3], s[6:7]
	s_cbranch_scc0 .LBB7_6
; %bb.1:
	s_lshl_b64 s[2:3], s[0:1], 3
	s_add_u32 s2, s8, s2
	s_addc_u32 s3, s9, s3
	v_lshlrev_b32_e32 v1, 3, v0
	global_load_dwordx2 v[1:2], v1, s[2:3]
	s_waitcnt vmcnt(0)
	s_nop 0
	v_mov_b32_dpp v4, v1 quad_perm:[1,0,3,2] row_mask:0xf bank_mask:0xf
	v_mov_b32_dpp v5, v2 quad_perm:[1,0,3,2] row_mask:0xf bank_mask:0xf
	v_add_f64 v[1:2], v[1:2], v[4:5]
	s_nop 1
	v_mov_b32_dpp v4, v1 quad_perm:[2,3,0,1] row_mask:0xf bank_mask:0xf
	v_mov_b32_dpp v5, v2 quad_perm:[2,3,0,1] row_mask:0xf bank_mask:0xf
	v_add_f64 v[1:2], v[1:2], v[4:5]
	s_nop 1
	v_mov_b32_dpp v4, v1 row_ror:4 row_mask:0xf bank_mask:0xf
	v_mov_b32_dpp v5, v2 row_ror:4 row_mask:0xf bank_mask:0xf
	v_add_f64 v[1:2], v[1:2], v[4:5]
	s_nop 1
	v_mov_b32_dpp v4, v1 row_ror:8 row_mask:0xf bank_mask:0xf
	v_mov_b32_dpp v5, v2 row_ror:8 row_mask:0xf bank_mask:0xf
	v_add_f64 v[1:2], v[1:2], v[4:5]
	s_nop 1
	v_mov_b32_dpp v4, v1 row_bcast:15 row_mask:0xf bank_mask:0xf
	v_mov_b32_dpp v5, v2 row_bcast:15 row_mask:0xf bank_mask:0xf
	v_add_f64 v[1:2], v[1:2], v[4:5]
	s_nop 1
	v_mov_b32_dpp v4, v1 row_bcast:31 row_mask:0xf bank_mask:0xf
	v_mov_b32_dpp v5, v2 row_bcast:31 row_mask:0xf bank_mask:0xf
	v_add_f64 v[1:2], v[1:2], v[4:5]
	v_mbcnt_hi_u32_b32 v5, -1, v3
	v_lshlrev_b32_e32 v4, 2, v5
	v_or_b32_e32 v6, 0xfc, v4
	v_cmp_eq_u32_e32 vcc, 0, v5
	ds_bpermute_b32 v1, v6, v1
	ds_bpermute_b32 v2, v6, v2
	s_and_saveexec_b64 s[2:3], vcc
	s_cbranch_execz .LBB7_3
; %bb.2:
	v_lshrrev_b32_e32 v6, 3, v0
	v_and_b32_e32 v6, 8, v6
	s_waitcnt lgkmcnt(0)
	ds_write_b64 v6, v[1:2]
.LBB7_3:
	s_or_b64 exec, exec, s[2:3]
	v_cmp_gt_u32_e32 vcc, 64, v0
	s_waitcnt lgkmcnt(0)
	s_barrier
	s_and_saveexec_b64 s[2:3], vcc
	s_cbranch_execz .LBB7_5
; %bb.4:
	v_and_b32_e32 v1, 1, v5
	v_lshlrev_b32_e32 v1, 3, v1
	ds_read_b64 v[1:2], v1
	v_or_b32_e32 v5, 4, v4
	s_waitcnt lgkmcnt(0)
	ds_bpermute_b32 v4, v5, v1
	ds_bpermute_b32 v5, v5, v2
	s_waitcnt lgkmcnt(0)
	v_add_f64 v[1:2], v[1:2], v[4:5]
.LBB7_5:
	s_or_b64 exec, exec, s[2:3]
	s_branch .LBB7_24
.LBB7_6:
                                        ; implicit-def: $vgpr1_vgpr2
	s_cbranch_execz .LBB7_24
; %bb.7:
	s_sub_i32 s4, s10, s0
	v_cmp_gt_u32_e32 vcc, s4, v0
                                        ; implicit-def: $vgpr1_vgpr2
	s_and_saveexec_b64 s[2:3], vcc
	s_cbranch_execz .LBB7_9
; %bb.8:
	s_lshl_b64 s[0:1], s[0:1], 3
	s_add_u32 s0, s8, s0
	s_addc_u32 s1, s9, s1
	v_lshlrev_b32_e32 v1, 3, v0
	global_load_dwordx2 v[1:2], v1, s[0:1]
.LBB7_9:
	s_or_b64 exec, exec, s[2:3]
	v_mbcnt_hi_u32_b32 v5, -1, v3
	v_and_b32_e32 v7, 63, v5
	v_cmp_ne_u32_e32 vcc, 63, v7
	v_addc_co_u32_e32 v3, vcc, 0, v5, vcc
	v_lshlrev_b32_e32 v4, 2, v3
	s_waitcnt vmcnt(0)
	ds_bpermute_b32 v3, v4, v1
	ds_bpermute_b32 v4, v4, v2
	s_min_u32 s2, s4, 0x80
	v_and_b32_e32 v6, 64, v0
	v_sub_u32_e64 v6, s2, v6 clamp
	v_add_u32_e32 v8, 1, v5
	v_cmp_lt_u32_e32 vcc, v8, v6
	s_and_saveexec_b64 s[0:1], vcc
	s_cbranch_execz .LBB7_11
; %bb.10:
	s_waitcnt lgkmcnt(0)
	v_add_f64 v[1:2], v[1:2], v[3:4]
.LBB7_11:
	s_or_b64 exec, exec, s[0:1]
	v_cmp_gt_u32_e32 vcc, 62, v7
	s_waitcnt lgkmcnt(1)
	v_cndmask_b32_e64 v3, 0, 2, vcc
	s_waitcnt lgkmcnt(0)
	v_add_lshl_u32 v4, v3, v5, 2
	ds_bpermute_b32 v3, v4, v1
	ds_bpermute_b32 v4, v4, v2
	v_add_u32_e32 v8, 2, v5
	v_cmp_lt_u32_e32 vcc, v8, v6
	s_and_saveexec_b64 s[0:1], vcc
	s_cbranch_execz .LBB7_13
; %bb.12:
	s_waitcnt lgkmcnt(0)
	v_add_f64 v[1:2], v[1:2], v[3:4]
.LBB7_13:
	s_or_b64 exec, exec, s[0:1]
	v_cmp_gt_u32_e32 vcc, 60, v7
	s_waitcnt lgkmcnt(1)
	v_cndmask_b32_e64 v3, 0, 4, vcc
	s_waitcnt lgkmcnt(0)
	v_add_lshl_u32 v4, v3, v5, 2
	ds_bpermute_b32 v3, v4, v1
	ds_bpermute_b32 v4, v4, v2
	;; [unrolled: 16-line block ×4, first 2 shown]
	v_add_u32_e32 v7, 16, v5
	v_cmp_lt_u32_e32 vcc, v7, v6
	s_and_saveexec_b64 s[0:1], vcc
	s_cbranch_execz .LBB7_19
; %bb.18:
	s_waitcnt lgkmcnt(0)
	v_add_f64 v[1:2], v[1:2], v[3:4]
.LBB7_19:
	s_or_b64 exec, exec, s[0:1]
	s_waitcnt lgkmcnt(1)
	v_lshlrev_b32_e32 v3, 2, v5
	s_waitcnt lgkmcnt(0)
	v_or_b32_e32 v4, 0x80, v3
	ds_bpermute_b32 v7, v4, v1
	ds_bpermute_b32 v8, v4, v2
	v_add_u32_e32 v4, 32, v5
	v_cmp_lt_u32_e32 vcc, v4, v6
	s_waitcnt lgkmcnt(0)
	v_add_f64 v[7:8], v[1:2], v[7:8]
	v_cndmask_b32_e32 v2, v2, v8, vcc
	v_cndmask_b32_e32 v1, v1, v7, vcc
	v_cmp_eq_u32_e32 vcc, 0, v5
	s_and_saveexec_b64 s[0:1], vcc
; %bb.20:
	v_lshrrev_b32_e32 v4, 3, v0
	v_and_b32_e32 v4, 8, v4
	ds_write_b64 v4, v[1:2] offset:16
; %bb.21:
	s_or_b64 exec, exec, s[0:1]
	v_cmp_gt_u32_e32 vcc, 2, v0
	s_waitcnt lgkmcnt(0)
	s_barrier
	s_and_saveexec_b64 s[0:1], vcc
	s_cbranch_execz .LBB7_23
; %bb.22:
	v_lshlrev_b32_e32 v1, 3, v5
	ds_read_b64 v[1:2], v1 offset:16
	v_or_b32_e32 v4, 4, v3
	s_add_i32 s2, s2, 63
	v_and_b32_e32 v5, 1, v5
	s_lshr_b32 s2, s2, 6
	s_waitcnt lgkmcnt(0)
	ds_bpermute_b32 v3, v4, v1
	ds_bpermute_b32 v4, v4, v2
	v_add_u32_e32 v5, 1, v5
	v_cmp_gt_u32_e32 vcc, s2, v5
	s_waitcnt lgkmcnt(0)
	v_add_f64 v[3:4], v[1:2], v[3:4]
	v_cndmask_b32_e32 v2, v2, v4, vcc
	v_cndmask_b32_e32 v1, v1, v3, vcc
.LBB7_23:
	s_or_b64 exec, exec, s[0:1]
.LBB7_24:
	v_cmp_eq_u32_e32 vcc, 0, v0
	s_and_saveexec_b64 s[0:1], vcc
	s_cbranch_execnz .LBB7_26
; %bb.25:
	s_endpgm
.LBB7_26:
	v_add_f64 v[0:1], s[14:15], v[1:2]
	s_lshl_b64 s[0:1], s[6:7], 3
	s_add_u32 s0, s12, s0
	s_addc_u32 s1, s13, s1
	s_cmp_eq_u64 s[10:11], 0
	v_mov_b32_e32 v3, s15
	s_cselect_b64 vcc, -1, 0
	v_mov_b32_e32 v2, 0
	v_cndmask_b32_e32 v1, v1, v3, vcc
	v_mov_b32_e32 v3, s14
	v_cndmask_b32_e32 v0, v0, v3, vcc
	global_store_dwordx2 v2, v[0:1], s[0:1]
	s_endpgm
	.section	.rodata,"a",@progbits
	.p2align	6, 0x0
	.amdhsa_kernel _ZN7rocprim6detail19block_reduce_kernelILb1ELb0ELj4ENS0_21wrapped_reduce_configINS_14default_configEdEEdPdS5_dNS_4plusIdEEEEvT4_mT5_T6_T7_
		.amdhsa_group_segment_fixed_size 32
		.amdhsa_private_segment_fixed_size 0
		.amdhsa_kernarg_size 36
		.amdhsa_user_sgpr_count 6
		.amdhsa_user_sgpr_private_segment_buffer 1
		.amdhsa_user_sgpr_dispatch_ptr 0
		.amdhsa_user_sgpr_queue_ptr 0
		.amdhsa_user_sgpr_kernarg_segment_ptr 1
		.amdhsa_user_sgpr_dispatch_id 0
		.amdhsa_user_sgpr_flat_scratch_init 0
		.amdhsa_user_sgpr_private_segment_size 0
		.amdhsa_uses_dynamic_stack 0
		.amdhsa_system_sgpr_private_segment_wavefront_offset 0
		.amdhsa_system_sgpr_workgroup_id_x 1
		.amdhsa_system_sgpr_workgroup_id_y 0
		.amdhsa_system_sgpr_workgroup_id_z 0
		.amdhsa_system_sgpr_workgroup_info 0
		.amdhsa_system_vgpr_workitem_id 0
		.amdhsa_next_free_vgpr 9
		.amdhsa_next_free_sgpr 16
		.amdhsa_reserve_vcc 1
		.amdhsa_reserve_flat_scratch 0
		.amdhsa_float_round_mode_32 0
		.amdhsa_float_round_mode_16_64 0
		.amdhsa_float_denorm_mode_32 3
		.amdhsa_float_denorm_mode_16_64 3
		.amdhsa_dx10_clamp 1
		.amdhsa_ieee_mode 1
		.amdhsa_fp16_overflow 0
		.amdhsa_exception_fp_ieee_invalid_op 0
		.amdhsa_exception_fp_denorm_src 0
		.amdhsa_exception_fp_ieee_div_zero 0
		.amdhsa_exception_fp_ieee_overflow 0
		.amdhsa_exception_fp_ieee_underflow 0
		.amdhsa_exception_fp_ieee_inexact 0
		.amdhsa_exception_int_div_zero 0
	.end_amdhsa_kernel
	.section	.text._ZN7rocprim6detail19block_reduce_kernelILb1ELb0ELj4ENS0_21wrapped_reduce_configINS_14default_configEdEEdPdS5_dNS_4plusIdEEEEvT4_mT5_T6_T7_,"axG",@progbits,_ZN7rocprim6detail19block_reduce_kernelILb1ELb0ELj4ENS0_21wrapped_reduce_configINS_14default_configEdEEdPdS5_dNS_4plusIdEEEEvT4_mT5_T6_T7_,comdat
.Lfunc_end7:
	.size	_ZN7rocprim6detail19block_reduce_kernelILb1ELb0ELj4ENS0_21wrapped_reduce_configINS_14default_configEdEEdPdS5_dNS_4plusIdEEEEvT4_mT5_T6_T7_, .Lfunc_end7-_ZN7rocprim6detail19block_reduce_kernelILb1ELb0ELj4ENS0_21wrapped_reduce_configINS_14default_configEdEEdPdS5_dNS_4plusIdEEEEvT4_mT5_T6_T7_
                                        ; -- End function
	.set _ZN7rocprim6detail19block_reduce_kernelILb1ELb0ELj4ENS0_21wrapped_reduce_configINS_14default_configEdEEdPdS5_dNS_4plusIdEEEEvT4_mT5_T6_T7_.num_vgpr, 9
	.set _ZN7rocprim6detail19block_reduce_kernelILb1ELb0ELj4ENS0_21wrapped_reduce_configINS_14default_configEdEEdPdS5_dNS_4plusIdEEEEvT4_mT5_T6_T7_.num_agpr, 0
	.set _ZN7rocprim6detail19block_reduce_kernelILb1ELb0ELj4ENS0_21wrapped_reduce_configINS_14default_configEdEEdPdS5_dNS_4plusIdEEEEvT4_mT5_T6_T7_.numbered_sgpr, 16
	.set _ZN7rocprim6detail19block_reduce_kernelILb1ELb0ELj4ENS0_21wrapped_reduce_configINS_14default_configEdEEdPdS5_dNS_4plusIdEEEEvT4_mT5_T6_T7_.num_named_barrier, 0
	.set _ZN7rocprim6detail19block_reduce_kernelILb1ELb0ELj4ENS0_21wrapped_reduce_configINS_14default_configEdEEdPdS5_dNS_4plusIdEEEEvT4_mT5_T6_T7_.private_seg_size, 0
	.set _ZN7rocprim6detail19block_reduce_kernelILb1ELb0ELj4ENS0_21wrapped_reduce_configINS_14default_configEdEEdPdS5_dNS_4plusIdEEEEvT4_mT5_T6_T7_.uses_vcc, 1
	.set _ZN7rocprim6detail19block_reduce_kernelILb1ELb0ELj4ENS0_21wrapped_reduce_configINS_14default_configEdEEdPdS5_dNS_4plusIdEEEEvT4_mT5_T6_T7_.uses_flat_scratch, 0
	.set _ZN7rocprim6detail19block_reduce_kernelILb1ELb0ELj4ENS0_21wrapped_reduce_configINS_14default_configEdEEdPdS5_dNS_4plusIdEEEEvT4_mT5_T6_T7_.has_dyn_sized_stack, 0
	.set _ZN7rocprim6detail19block_reduce_kernelILb1ELb0ELj4ENS0_21wrapped_reduce_configINS_14default_configEdEEdPdS5_dNS_4plusIdEEEEvT4_mT5_T6_T7_.has_recursion, 0
	.set _ZN7rocprim6detail19block_reduce_kernelILb1ELb0ELj4ENS0_21wrapped_reduce_configINS_14default_configEdEEdPdS5_dNS_4plusIdEEEEvT4_mT5_T6_T7_.has_indirect_call, 0
	.section	.AMDGPU.csdata,"",@progbits
; Kernel info:
; codeLenInByte = 1108
; TotalNumSgprs: 20
; NumVgprs: 9
; ScratchSize: 0
; MemoryBound: 0
; FloatMode: 240
; IeeeMode: 1
; LDSByteSize: 32 bytes/workgroup (compile time only)
; SGPRBlocks: 2
; VGPRBlocks: 2
; NumSGPRsForWavesPerEU: 20
; NumVGPRsForWavesPerEU: 9
; Occupancy: 10
; WaveLimiterHint : 0
; COMPUTE_PGM_RSRC2:SCRATCH_EN: 0
; COMPUTE_PGM_RSRC2:USER_SGPR: 6
; COMPUTE_PGM_RSRC2:TRAP_HANDLER: 0
; COMPUTE_PGM_RSRC2:TGID_X_EN: 1
; COMPUTE_PGM_RSRC2:TGID_Y_EN: 0
; COMPUTE_PGM_RSRC2:TGID_Z_EN: 0
; COMPUTE_PGM_RSRC2:TIDIG_COMP_CNT: 0
	.section	.text._ZN7rocprim6detail19block_reduce_kernelILb1ELb0ELj2ENS0_21wrapped_reduce_configINS_14default_configEdEEdPdS5_dNS_4plusIdEEEEvT4_mT5_T6_T7_,"axG",@progbits,_ZN7rocprim6detail19block_reduce_kernelILb1ELb0ELj2ENS0_21wrapped_reduce_configINS_14default_configEdEEdPdS5_dNS_4plusIdEEEEvT4_mT5_T6_T7_,comdat
	.protected	_ZN7rocprim6detail19block_reduce_kernelILb1ELb0ELj2ENS0_21wrapped_reduce_configINS_14default_configEdEEdPdS5_dNS_4plusIdEEEEvT4_mT5_T6_T7_ ; -- Begin function _ZN7rocprim6detail19block_reduce_kernelILb1ELb0ELj2ENS0_21wrapped_reduce_configINS_14default_configEdEEdPdS5_dNS_4plusIdEEEEvT4_mT5_T6_T7_
	.globl	_ZN7rocprim6detail19block_reduce_kernelILb1ELb0ELj2ENS0_21wrapped_reduce_configINS_14default_configEdEEdPdS5_dNS_4plusIdEEEEvT4_mT5_T6_T7_
	.p2align	8
	.type	_ZN7rocprim6detail19block_reduce_kernelILb1ELb0ELj2ENS0_21wrapped_reduce_configINS_14default_configEdEEdPdS5_dNS_4plusIdEEEEvT4_mT5_T6_T7_,@function
_ZN7rocprim6detail19block_reduce_kernelILb1ELb0ELj2ENS0_21wrapped_reduce_configINS_14default_configEdEEdPdS5_dNS_4plusIdEEEEvT4_mT5_T6_T7_: ; @_ZN7rocprim6detail19block_reduce_kernelILb1ELb0ELj2ENS0_21wrapped_reduce_configINS_14default_configEdEEdPdS5_dNS_4plusIdEEEEvT4_mT5_T6_T7_
; %bb.0:
	s_load_dwordx8 s[8:15], s[4:5], 0x0
	s_lshl_b32 s0, s6, 8
	s_mov_b32 s1, 0
	s_lshl_b64 s[4:5], s[0:1], 3
	s_mov_b32 s7, s1
	s_waitcnt lgkmcnt(0)
	s_lshr_b64 s[2:3], s[10:11], 8
	s_add_u32 s1, s8, s4
	s_addc_u32 s4, s9, s5
	v_lshlrev_b32_e32 v1, 3, v0
	v_mov_b32_e32 v2, s4
	v_add_co_u32_e32 v5, vcc, s1, v1
	s_cmp_lg_u64 s[2:3], s[6:7]
	v_addc_co_u32_e32 v6, vcc, 0, v2, vcc
	v_mbcnt_lo_u32_b32 v7, -1, 0
	s_cbranch_scc0 .LBB8_6
; %bb.1:
	global_load_dwordx2 v[1:2], v[5:6], off
	global_load_dwordx2 v[3:4], v[5:6], off offset:1024
	s_waitcnt vmcnt(0)
	v_add_f64 v[1:2], v[1:2], v[3:4]
	s_nop 1
	v_mov_b32_dpp v3, v1 quad_perm:[1,0,3,2] row_mask:0xf bank_mask:0xf
	v_mov_b32_dpp v4, v2 quad_perm:[1,0,3,2] row_mask:0xf bank_mask:0xf
	v_add_f64 v[1:2], v[1:2], v[3:4]
	s_nop 1
	v_mov_b32_dpp v3, v1 quad_perm:[2,3,0,1] row_mask:0xf bank_mask:0xf
	v_mov_b32_dpp v4, v2 quad_perm:[2,3,0,1] row_mask:0xf bank_mask:0xf
	v_add_f64 v[1:2], v[1:2], v[3:4]
	s_nop 1
	v_mov_b32_dpp v3, v1 row_ror:4 row_mask:0xf bank_mask:0xf
	v_mov_b32_dpp v4, v2 row_ror:4 row_mask:0xf bank_mask:0xf
	v_add_f64 v[1:2], v[1:2], v[3:4]
	s_nop 1
	v_mov_b32_dpp v3, v1 row_ror:8 row_mask:0xf bank_mask:0xf
	v_mov_b32_dpp v4, v2 row_ror:8 row_mask:0xf bank_mask:0xf
	v_add_f64 v[1:2], v[1:2], v[3:4]
	s_nop 1
	v_mov_b32_dpp v3, v1 row_bcast:15 row_mask:0xf bank_mask:0xf
	v_mov_b32_dpp v4, v2 row_bcast:15 row_mask:0xf bank_mask:0xf
	v_add_f64 v[1:2], v[1:2], v[3:4]
	s_nop 1
	v_mov_b32_dpp v3, v1 row_bcast:31 row_mask:0xf bank_mask:0xf
	v_mov_b32_dpp v4, v2 row_bcast:31 row_mask:0xf bank_mask:0xf
	v_add_f64 v[1:2], v[1:2], v[3:4]
	v_mbcnt_hi_u32_b32 v4, -1, v7
	v_lshlrev_b32_e32 v3, 2, v4
	v_or_b32_e32 v8, 0xfc, v3
	v_cmp_eq_u32_e32 vcc, 0, v4
	ds_bpermute_b32 v1, v8, v1
	ds_bpermute_b32 v2, v8, v2
	s_and_saveexec_b64 s[2:3], vcc
	s_cbranch_execz .LBB8_3
; %bb.2:
	v_lshrrev_b32_e32 v8, 3, v0
	v_and_b32_e32 v8, 8, v8
	s_waitcnt lgkmcnt(0)
	ds_write_b64 v8, v[1:2]
.LBB8_3:
	s_or_b64 exec, exec, s[2:3]
	v_cmp_gt_u32_e32 vcc, 64, v0
	s_waitcnt lgkmcnt(0)
	s_barrier
	s_and_saveexec_b64 s[2:3], vcc
	s_cbranch_execz .LBB8_5
; %bb.4:
	v_and_b32_e32 v1, 1, v4
	v_lshlrev_b32_e32 v1, 3, v1
	ds_read_b64 v[1:2], v1
	v_or_b32_e32 v4, 4, v3
	s_waitcnt lgkmcnt(0)
	ds_bpermute_b32 v3, v4, v1
	ds_bpermute_b32 v4, v4, v2
	s_waitcnt lgkmcnt(0)
	v_add_f64 v[1:2], v[1:2], v[3:4]
.LBB8_5:
	s_or_b64 exec, exec, s[2:3]
	s_branch .LBB8_26
.LBB8_6:
                                        ; implicit-def: $vgpr1_vgpr2
	s_cbranch_execz .LBB8_26
; %bb.7:
	s_sub_i32 s2, s10, s0
	v_mov_b32_e32 v1, 0
	v_cmp_gt_u32_e32 vcc, s2, v0
	v_mov_b32_e32 v2, v1
	v_mov_b32_e32 v3, v1
	;; [unrolled: 1-line block ×3, first 2 shown]
	s_and_saveexec_b64 s[0:1], vcc
	s_cbranch_execz .LBB8_9
; %bb.8:
	global_load_dwordx2 v[8:9], v[5:6], off
	v_mov_b32_e32 v10, v1
	v_mov_b32_e32 v11, v1
	s_waitcnt vmcnt(0)
	v_mov_b32_e32 v1, v8
	v_mov_b32_e32 v2, v9
	;; [unrolled: 1-line block ×4, first 2 shown]
.LBB8_9:
	s_or_b64 exec, exec, s[0:1]
	v_or_b32_e32 v8, 0x80, v0
	v_cmp_gt_u32_e32 vcc, s2, v8
	s_and_saveexec_b64 s[0:1], vcc
	s_cbranch_execz .LBB8_11
; %bb.10:
	global_load_dwordx2 v[3:4], v[5:6], off offset:1024
.LBB8_11:
	s_or_b64 exec, exec, s[0:1]
	s_waitcnt vmcnt(0)
	v_add_f64 v[3:4], v[3:4], v[1:2]
	v_mbcnt_hi_u32_b32 v5, -1, v7
	v_and_b32_e32 v7, 63, v5
	v_cmp_ne_u32_e64 s[0:1], 63, v7
	v_addc_co_u32_e64 v6, s[0:1], 0, v5, s[0:1]
	s_min_u32 s2, s2, 0x80
	v_add_u32_e32 v8, 1, v5
	v_cndmask_b32_e32 v2, v2, v4, vcc
	v_cndmask_b32_e32 v1, v1, v3, vcc
	v_lshlrev_b32_e32 v4, 2, v6
	ds_bpermute_b32 v3, v4, v1
	ds_bpermute_b32 v4, v4, v2
	v_and_b32_e32 v6, 64, v0
	v_sub_u32_e64 v6, s2, v6 clamp
	v_cmp_lt_u32_e32 vcc, v8, v6
	s_and_saveexec_b64 s[0:1], vcc
	s_cbranch_execz .LBB8_13
; %bb.12:
	s_waitcnt lgkmcnt(0)
	v_add_f64 v[1:2], v[1:2], v[3:4]
.LBB8_13:
	s_or_b64 exec, exec, s[0:1]
	v_cmp_gt_u32_e32 vcc, 62, v7
	s_waitcnt lgkmcnt(1)
	v_cndmask_b32_e64 v3, 0, 2, vcc
	s_waitcnt lgkmcnt(0)
	v_add_lshl_u32 v4, v3, v5, 2
	ds_bpermute_b32 v3, v4, v1
	ds_bpermute_b32 v4, v4, v2
	v_add_u32_e32 v8, 2, v5
	v_cmp_lt_u32_e32 vcc, v8, v6
	s_and_saveexec_b64 s[0:1], vcc
	s_cbranch_execz .LBB8_15
; %bb.14:
	s_waitcnt lgkmcnt(0)
	v_add_f64 v[1:2], v[1:2], v[3:4]
.LBB8_15:
	s_or_b64 exec, exec, s[0:1]
	v_cmp_gt_u32_e32 vcc, 60, v7
	s_waitcnt lgkmcnt(1)
	v_cndmask_b32_e64 v3, 0, 4, vcc
	s_waitcnt lgkmcnt(0)
	v_add_lshl_u32 v4, v3, v5, 2
	ds_bpermute_b32 v3, v4, v1
	ds_bpermute_b32 v4, v4, v2
	v_add_u32_e32 v8, 4, v5
	;; [unrolled: 16-line block ×4, first 2 shown]
	v_cmp_lt_u32_e32 vcc, v7, v6
	s_and_saveexec_b64 s[0:1], vcc
	s_cbranch_execz .LBB8_21
; %bb.20:
	s_waitcnt lgkmcnt(0)
	v_add_f64 v[1:2], v[1:2], v[3:4]
.LBB8_21:
	s_or_b64 exec, exec, s[0:1]
	s_waitcnt lgkmcnt(1)
	v_lshlrev_b32_e32 v3, 2, v5
	s_waitcnt lgkmcnt(0)
	v_or_b32_e32 v4, 0x80, v3
	ds_bpermute_b32 v7, v4, v1
	ds_bpermute_b32 v8, v4, v2
	v_add_u32_e32 v4, 32, v5
	v_cmp_lt_u32_e32 vcc, v4, v6
	s_waitcnt lgkmcnt(0)
	v_add_f64 v[7:8], v[1:2], v[7:8]
	v_cndmask_b32_e32 v2, v2, v8, vcc
	v_cndmask_b32_e32 v1, v1, v7, vcc
	v_cmp_eq_u32_e32 vcc, 0, v5
	s_and_saveexec_b64 s[0:1], vcc
; %bb.22:
	v_lshrrev_b32_e32 v4, 3, v0
	v_and_b32_e32 v4, 8, v4
	ds_write_b64 v4, v[1:2] offset:16
; %bb.23:
	s_or_b64 exec, exec, s[0:1]
	v_cmp_gt_u32_e32 vcc, 2, v0
	s_waitcnt lgkmcnt(0)
	s_barrier
	s_and_saveexec_b64 s[0:1], vcc
	s_cbranch_execz .LBB8_25
; %bb.24:
	v_lshlrev_b32_e32 v1, 3, v5
	ds_read_b64 v[1:2], v1 offset:16
	v_or_b32_e32 v4, 4, v3
	s_add_i32 s2, s2, 63
	v_and_b32_e32 v5, 1, v5
	s_lshr_b32 s2, s2, 6
	s_waitcnt lgkmcnt(0)
	ds_bpermute_b32 v3, v4, v1
	ds_bpermute_b32 v4, v4, v2
	v_add_u32_e32 v5, 1, v5
	v_cmp_gt_u32_e32 vcc, s2, v5
	s_waitcnt lgkmcnt(0)
	v_add_f64 v[3:4], v[1:2], v[3:4]
	v_cndmask_b32_e32 v2, v2, v4, vcc
	v_cndmask_b32_e32 v1, v1, v3, vcc
.LBB8_25:
	s_or_b64 exec, exec, s[0:1]
.LBB8_26:
	v_cmp_eq_u32_e32 vcc, 0, v0
	s_and_saveexec_b64 s[0:1], vcc
	s_cbranch_execnz .LBB8_28
; %bb.27:
	s_endpgm
.LBB8_28:
	v_add_f64 v[0:1], s[14:15], v[1:2]
	s_lshl_b64 s[0:1], s[6:7], 3
	s_add_u32 s0, s12, s0
	s_addc_u32 s1, s13, s1
	s_cmp_eq_u64 s[10:11], 0
	v_mov_b32_e32 v3, s15
	s_cselect_b64 vcc, -1, 0
	v_mov_b32_e32 v2, 0
	v_cndmask_b32_e32 v1, v1, v3, vcc
	v_mov_b32_e32 v3, s14
	v_cndmask_b32_e32 v0, v0, v3, vcc
	global_store_dwordx2 v2, v[0:1], s[0:1]
	s_endpgm
	.section	.rodata,"a",@progbits
	.p2align	6, 0x0
	.amdhsa_kernel _ZN7rocprim6detail19block_reduce_kernelILb1ELb0ELj2ENS0_21wrapped_reduce_configINS_14default_configEdEEdPdS5_dNS_4plusIdEEEEvT4_mT5_T6_T7_
		.amdhsa_group_segment_fixed_size 32
		.amdhsa_private_segment_fixed_size 0
		.amdhsa_kernarg_size 36
		.amdhsa_user_sgpr_count 6
		.amdhsa_user_sgpr_private_segment_buffer 1
		.amdhsa_user_sgpr_dispatch_ptr 0
		.amdhsa_user_sgpr_queue_ptr 0
		.amdhsa_user_sgpr_kernarg_segment_ptr 1
		.amdhsa_user_sgpr_dispatch_id 0
		.amdhsa_user_sgpr_flat_scratch_init 0
		.amdhsa_user_sgpr_private_segment_size 0
		.amdhsa_uses_dynamic_stack 0
		.amdhsa_system_sgpr_private_segment_wavefront_offset 0
		.amdhsa_system_sgpr_workgroup_id_x 1
		.amdhsa_system_sgpr_workgroup_id_y 0
		.amdhsa_system_sgpr_workgroup_id_z 0
		.amdhsa_system_sgpr_workgroup_info 0
		.amdhsa_system_vgpr_workitem_id 0
		.amdhsa_next_free_vgpr 12
		.amdhsa_next_free_sgpr 16
		.amdhsa_reserve_vcc 1
		.amdhsa_reserve_flat_scratch 0
		.amdhsa_float_round_mode_32 0
		.amdhsa_float_round_mode_16_64 0
		.amdhsa_float_denorm_mode_32 3
		.amdhsa_float_denorm_mode_16_64 3
		.amdhsa_dx10_clamp 1
		.amdhsa_ieee_mode 1
		.amdhsa_fp16_overflow 0
		.amdhsa_exception_fp_ieee_invalid_op 0
		.amdhsa_exception_fp_denorm_src 0
		.amdhsa_exception_fp_ieee_div_zero 0
		.amdhsa_exception_fp_ieee_overflow 0
		.amdhsa_exception_fp_ieee_underflow 0
		.amdhsa_exception_fp_ieee_inexact 0
		.amdhsa_exception_int_div_zero 0
	.end_amdhsa_kernel
	.section	.text._ZN7rocprim6detail19block_reduce_kernelILb1ELb0ELj2ENS0_21wrapped_reduce_configINS_14default_configEdEEdPdS5_dNS_4plusIdEEEEvT4_mT5_T6_T7_,"axG",@progbits,_ZN7rocprim6detail19block_reduce_kernelILb1ELb0ELj2ENS0_21wrapped_reduce_configINS_14default_configEdEEdPdS5_dNS_4plusIdEEEEvT4_mT5_T6_T7_,comdat
.Lfunc_end8:
	.size	_ZN7rocprim6detail19block_reduce_kernelILb1ELb0ELj2ENS0_21wrapped_reduce_configINS_14default_configEdEEdPdS5_dNS_4plusIdEEEEvT4_mT5_T6_T7_, .Lfunc_end8-_ZN7rocprim6detail19block_reduce_kernelILb1ELb0ELj2ENS0_21wrapped_reduce_configINS_14default_configEdEEdPdS5_dNS_4plusIdEEEEvT4_mT5_T6_T7_
                                        ; -- End function
	.set _ZN7rocprim6detail19block_reduce_kernelILb1ELb0ELj2ENS0_21wrapped_reduce_configINS_14default_configEdEEdPdS5_dNS_4plusIdEEEEvT4_mT5_T6_T7_.num_vgpr, 12
	.set _ZN7rocprim6detail19block_reduce_kernelILb1ELb0ELj2ENS0_21wrapped_reduce_configINS_14default_configEdEEdPdS5_dNS_4plusIdEEEEvT4_mT5_T6_T7_.num_agpr, 0
	.set _ZN7rocprim6detail19block_reduce_kernelILb1ELb0ELj2ENS0_21wrapped_reduce_configINS_14default_configEdEEdPdS5_dNS_4plusIdEEEEvT4_mT5_T6_T7_.numbered_sgpr, 16
	.set _ZN7rocprim6detail19block_reduce_kernelILb1ELb0ELj2ENS0_21wrapped_reduce_configINS_14default_configEdEEdPdS5_dNS_4plusIdEEEEvT4_mT5_T6_T7_.num_named_barrier, 0
	.set _ZN7rocprim6detail19block_reduce_kernelILb1ELb0ELj2ENS0_21wrapped_reduce_configINS_14default_configEdEEdPdS5_dNS_4plusIdEEEEvT4_mT5_T6_T7_.private_seg_size, 0
	.set _ZN7rocprim6detail19block_reduce_kernelILb1ELb0ELj2ENS0_21wrapped_reduce_configINS_14default_configEdEEdPdS5_dNS_4plusIdEEEEvT4_mT5_T6_T7_.uses_vcc, 1
	.set _ZN7rocprim6detail19block_reduce_kernelILb1ELb0ELj2ENS0_21wrapped_reduce_configINS_14default_configEdEEdPdS5_dNS_4plusIdEEEEvT4_mT5_T6_T7_.uses_flat_scratch, 0
	.set _ZN7rocprim6detail19block_reduce_kernelILb1ELb0ELj2ENS0_21wrapped_reduce_configINS_14default_configEdEEdPdS5_dNS_4plusIdEEEEvT4_mT5_T6_T7_.has_dyn_sized_stack, 0
	.set _ZN7rocprim6detail19block_reduce_kernelILb1ELb0ELj2ENS0_21wrapped_reduce_configINS_14default_configEdEEdPdS5_dNS_4plusIdEEEEvT4_mT5_T6_T7_.has_recursion, 0
	.set _ZN7rocprim6detail19block_reduce_kernelILb1ELb0ELj2ENS0_21wrapped_reduce_configINS_14default_configEdEEdPdS5_dNS_4plusIdEEEEvT4_mT5_T6_T7_.has_indirect_call, 0
	.section	.AMDGPU.csdata,"",@progbits
; Kernel info:
; codeLenInByte = 1220
; TotalNumSgprs: 20
; NumVgprs: 12
; ScratchSize: 0
; MemoryBound: 1
; FloatMode: 240
; IeeeMode: 1
; LDSByteSize: 32 bytes/workgroup (compile time only)
; SGPRBlocks: 2
; VGPRBlocks: 2
; NumSGPRsForWavesPerEU: 20
; NumVGPRsForWavesPerEU: 12
; Occupancy: 10
; WaveLimiterHint : 1
; COMPUTE_PGM_RSRC2:SCRATCH_EN: 0
; COMPUTE_PGM_RSRC2:USER_SGPR: 6
; COMPUTE_PGM_RSRC2:TRAP_HANDLER: 0
; COMPUTE_PGM_RSRC2:TGID_X_EN: 1
; COMPUTE_PGM_RSRC2:TGID_Y_EN: 0
; COMPUTE_PGM_RSRC2:TGID_Z_EN: 0
; COMPUTE_PGM_RSRC2:TIDIG_COMP_CNT: 0
	.section	.text._ZN7rocprim6detail19block_reduce_kernelILb1ELb0ELj1ENS0_21wrapped_reduce_configINS_14default_configEdEEdPdS5_dNS_4plusIdEEEEvT4_mT5_T6_T7_,"axG",@progbits,_ZN7rocprim6detail19block_reduce_kernelILb1ELb0ELj1ENS0_21wrapped_reduce_configINS_14default_configEdEEdPdS5_dNS_4plusIdEEEEvT4_mT5_T6_T7_,comdat
	.protected	_ZN7rocprim6detail19block_reduce_kernelILb1ELb0ELj1ENS0_21wrapped_reduce_configINS_14default_configEdEEdPdS5_dNS_4plusIdEEEEvT4_mT5_T6_T7_ ; -- Begin function _ZN7rocprim6detail19block_reduce_kernelILb1ELb0ELj1ENS0_21wrapped_reduce_configINS_14default_configEdEEdPdS5_dNS_4plusIdEEEEvT4_mT5_T6_T7_
	.globl	_ZN7rocprim6detail19block_reduce_kernelILb1ELb0ELj1ENS0_21wrapped_reduce_configINS_14default_configEdEEdPdS5_dNS_4plusIdEEEEvT4_mT5_T6_T7_
	.p2align	8
	.type	_ZN7rocprim6detail19block_reduce_kernelILb1ELb0ELj1ENS0_21wrapped_reduce_configINS_14default_configEdEEdPdS5_dNS_4plusIdEEEEvT4_mT5_T6_T7_,@function
_ZN7rocprim6detail19block_reduce_kernelILb1ELb0ELj1ENS0_21wrapped_reduce_configINS_14default_configEdEEdPdS5_dNS_4plusIdEEEEvT4_mT5_T6_T7_: ; @_ZN7rocprim6detail19block_reduce_kernelILb1ELb0ELj1ENS0_21wrapped_reduce_configINS_14default_configEdEEdPdS5_dNS_4plusIdEEEEvT4_mT5_T6_T7_
; %bb.0:
	s_load_dwordx8 s[8:15], s[4:5], 0x0
	s_lshl_b32 s0, s6, 9
	s_mov_b32 s1, 0
	s_lshl_b64 s[4:5], s[0:1], 3
	s_mov_b32 s7, s1
	s_waitcnt lgkmcnt(0)
	s_lshr_b64 s[2:3], s[10:11], 9
	s_add_u32 s1, s8, s4
	s_addc_u32 s4, s9, s5
	v_lshlrev_b32_e32 v1, 3, v0
	v_mov_b32_e32 v2, s4
	v_add_co_u32_e32 v9, vcc, s1, v1
	s_cmp_lg_u64 s[2:3], s[6:7]
	v_addc_co_u32_e32 v10, vcc, 0, v2, vcc
	v_mbcnt_lo_u32_b32 v11, -1, 0
	s_cbranch_scc0 .LBB9_6
; %bb.1:
	global_load_dwordx2 v[1:2], v[9:10], off
	global_load_dwordx2 v[3:4], v[9:10], off offset:1024
	global_load_dwordx2 v[5:6], v[9:10], off offset:2048
	;; [unrolled: 1-line block ×3, first 2 shown]
	s_waitcnt vmcnt(2)
	v_add_f64 v[1:2], v[1:2], v[3:4]
	s_waitcnt vmcnt(1)
	v_add_f64 v[1:2], v[1:2], v[5:6]
	;; [unrolled: 2-line block ×3, first 2 shown]
	s_nop 1
	v_mov_b32_dpp v3, v1 quad_perm:[1,0,3,2] row_mask:0xf bank_mask:0xf
	v_mov_b32_dpp v4, v2 quad_perm:[1,0,3,2] row_mask:0xf bank_mask:0xf
	v_add_f64 v[1:2], v[1:2], v[3:4]
	s_nop 1
	v_mov_b32_dpp v3, v1 quad_perm:[2,3,0,1] row_mask:0xf bank_mask:0xf
	v_mov_b32_dpp v4, v2 quad_perm:[2,3,0,1] row_mask:0xf bank_mask:0xf
	v_add_f64 v[1:2], v[1:2], v[3:4]
	s_nop 1
	v_mov_b32_dpp v3, v1 row_ror:4 row_mask:0xf bank_mask:0xf
	v_mov_b32_dpp v4, v2 row_ror:4 row_mask:0xf bank_mask:0xf
	v_add_f64 v[1:2], v[1:2], v[3:4]
	s_nop 1
	v_mov_b32_dpp v3, v1 row_ror:8 row_mask:0xf bank_mask:0xf
	v_mov_b32_dpp v4, v2 row_ror:8 row_mask:0xf bank_mask:0xf
	v_add_f64 v[1:2], v[1:2], v[3:4]
	s_nop 1
	v_mov_b32_dpp v3, v1 row_bcast:15 row_mask:0xf bank_mask:0xf
	v_mov_b32_dpp v4, v2 row_bcast:15 row_mask:0xf bank_mask:0xf
	v_add_f64 v[1:2], v[1:2], v[3:4]
	s_nop 1
	v_mov_b32_dpp v3, v1 row_bcast:31 row_mask:0xf bank_mask:0xf
	v_mov_b32_dpp v4, v2 row_bcast:31 row_mask:0xf bank_mask:0xf
	v_add_f64 v[1:2], v[1:2], v[3:4]
	v_mbcnt_hi_u32_b32 v4, -1, v11
	v_lshlrev_b32_e32 v3, 2, v4
	v_or_b32_e32 v5, 0xfc, v3
	v_cmp_eq_u32_e32 vcc, 0, v4
	ds_bpermute_b32 v1, v5, v1
	ds_bpermute_b32 v2, v5, v2
	s_and_saveexec_b64 s[2:3], vcc
	s_cbranch_execz .LBB9_3
; %bb.2:
	v_lshrrev_b32_e32 v5, 3, v0
	v_and_b32_e32 v5, 8, v5
	s_waitcnt lgkmcnt(0)
	ds_write_b64 v5, v[1:2]
.LBB9_3:
	s_or_b64 exec, exec, s[2:3]
	v_cmp_gt_u32_e32 vcc, 64, v0
	s_waitcnt lgkmcnt(0)
	s_barrier
	s_and_saveexec_b64 s[2:3], vcc
	s_cbranch_execz .LBB9_5
; %bb.4:
	v_and_b32_e32 v1, 1, v4
	v_lshlrev_b32_e32 v1, 3, v1
	ds_read_b64 v[1:2], v1
	v_or_b32_e32 v4, 4, v3
	s_waitcnt lgkmcnt(0)
	ds_bpermute_b32 v3, v4, v1
	ds_bpermute_b32 v4, v4, v2
	s_waitcnt lgkmcnt(0)
	v_add_f64 v[1:2], v[1:2], v[3:4]
.LBB9_5:
	s_or_b64 exec, exec, s[2:3]
	s_branch .LBB9_30
.LBB9_6:
                                        ; implicit-def: $vgpr1_vgpr2
	s_cbranch_execz .LBB9_30
; %bb.7:
	s_sub_i32 s8, s10, s0
	v_mov_b32_e32 v1, 0
	v_cmp_gt_u32_e32 vcc, s8, v0
	v_mov_b32_e32 v2, v1
	v_mov_b32_e32 v3, v1
	;; [unrolled: 1-line block ×7, first 2 shown]
	s_and_saveexec_b64 s[0:1], vcc
	s_cbranch_execz .LBB9_9
; %bb.8:
	global_load_dwordx2 v[12:13], v[9:10], off
	v_mov_b32_e32 v14, v1
	v_mov_b32_e32 v15, v1
	;; [unrolled: 1-line block ×6, first 2 shown]
	s_waitcnt vmcnt(0)
	v_mov_b32_e32 v1, v12
	v_mov_b32_e32 v2, v13
	v_mov_b32_e32 v3, v14
	v_mov_b32_e32 v4, v15
	v_mov_b32_e32 v5, v16
	v_mov_b32_e32 v6, v17
	v_mov_b32_e32 v7, v18
	v_mov_b32_e32 v8, v19
.LBB9_9:
	s_or_b64 exec, exec, s[0:1]
	v_or_b32_e32 v12, 0x80, v0
	v_cmp_gt_u32_e32 vcc, s8, v12
	s_and_saveexec_b64 s[0:1], vcc
	s_cbranch_execz .LBB9_11
; %bb.10:
	global_load_dwordx2 v[3:4], v[9:10], off offset:1024
.LBB9_11:
	s_or_b64 exec, exec, s[0:1]
	v_or_b32_e32 v12, 0x100, v0
	v_cmp_gt_u32_e64 s[2:3], s8, v12
	s_and_saveexec_b64 s[0:1], s[2:3]
	s_cbranch_execz .LBB9_13
; %bb.12:
	global_load_dwordx2 v[5:6], v[9:10], off offset:2048
.LBB9_13:
	s_or_b64 exec, exec, s[0:1]
	v_or_b32_e32 v12, 0x180, v0
	v_cmp_gt_u32_e64 s[0:1], s8, v12
	s_and_saveexec_b64 s[4:5], s[0:1]
	s_cbranch_execz .LBB9_15
; %bb.14:
	global_load_dwordx2 v[7:8], v[9:10], off offset:3072
.LBB9_15:
	s_or_b64 exec, exec, s[4:5]
	s_waitcnt vmcnt(0)
	v_add_f64 v[3:4], v[1:2], v[3:4]
	v_cndmask_b32_e32 v2, v2, v4, vcc
	v_cndmask_b32_e32 v1, v1, v3, vcc
	v_add_f64 v[3:4], v[5:6], v[1:2]
	v_mbcnt_hi_u32_b32 v5, -1, v11
	v_cndmask_b32_e64 v2, v2, v4, s[2:3]
	v_cndmask_b32_e64 v1, v1, v3, s[2:3]
	v_add_f64 v[3:4], v[7:8], v[1:2]
	v_and_b32_e32 v7, 63, v5
	v_cmp_ne_u32_e32 vcc, 63, v7
	v_addc_co_u32_e32 v6, vcc, 0, v5, vcc
	v_lshlrev_b32_e32 v6, 2, v6
	s_min_u32 s2, s8, 0x80
	v_add_u32_e32 v8, 1, v5
	v_cndmask_b32_e64 v2, v2, v4, s[0:1]
	v_cndmask_b32_e64 v1, v1, v3, s[0:1]
	ds_bpermute_b32 v3, v6, v1
	ds_bpermute_b32 v4, v6, v2
	v_and_b32_e32 v6, 64, v0
	v_sub_u32_e64 v6, s2, v6 clamp
	v_cmp_lt_u32_e32 vcc, v8, v6
	s_and_saveexec_b64 s[0:1], vcc
	s_cbranch_execz .LBB9_17
; %bb.16:
	s_waitcnt lgkmcnt(0)
	v_add_f64 v[1:2], v[1:2], v[3:4]
.LBB9_17:
	s_or_b64 exec, exec, s[0:1]
	v_cmp_gt_u32_e32 vcc, 62, v7
	s_waitcnt lgkmcnt(1)
	v_cndmask_b32_e64 v3, 0, 2, vcc
	s_waitcnt lgkmcnt(0)
	v_add_lshl_u32 v4, v3, v5, 2
	ds_bpermute_b32 v3, v4, v1
	ds_bpermute_b32 v4, v4, v2
	v_add_u32_e32 v8, 2, v5
	v_cmp_lt_u32_e32 vcc, v8, v6
	s_and_saveexec_b64 s[0:1], vcc
	s_cbranch_execz .LBB9_19
; %bb.18:
	s_waitcnt lgkmcnt(0)
	v_add_f64 v[1:2], v[1:2], v[3:4]
.LBB9_19:
	s_or_b64 exec, exec, s[0:1]
	v_cmp_gt_u32_e32 vcc, 60, v7
	s_waitcnt lgkmcnt(1)
	v_cndmask_b32_e64 v3, 0, 4, vcc
	s_waitcnt lgkmcnt(0)
	v_add_lshl_u32 v4, v3, v5, 2
	ds_bpermute_b32 v3, v4, v1
	ds_bpermute_b32 v4, v4, v2
	v_add_u32_e32 v8, 4, v5
	;; [unrolled: 16-line block ×4, first 2 shown]
	v_cmp_lt_u32_e32 vcc, v7, v6
	s_and_saveexec_b64 s[0:1], vcc
	s_cbranch_execz .LBB9_25
; %bb.24:
	s_waitcnt lgkmcnt(0)
	v_add_f64 v[1:2], v[1:2], v[3:4]
.LBB9_25:
	s_or_b64 exec, exec, s[0:1]
	s_waitcnt lgkmcnt(1)
	v_lshlrev_b32_e32 v3, 2, v5
	s_waitcnt lgkmcnt(0)
	v_or_b32_e32 v4, 0x80, v3
	ds_bpermute_b32 v7, v4, v1
	ds_bpermute_b32 v8, v4, v2
	v_add_u32_e32 v4, 32, v5
	v_cmp_lt_u32_e32 vcc, v4, v6
	s_waitcnt lgkmcnt(0)
	v_add_f64 v[7:8], v[1:2], v[7:8]
	v_cndmask_b32_e32 v2, v2, v8, vcc
	v_cndmask_b32_e32 v1, v1, v7, vcc
	v_cmp_eq_u32_e32 vcc, 0, v5
	s_and_saveexec_b64 s[0:1], vcc
; %bb.26:
	v_lshrrev_b32_e32 v4, 3, v0
	v_and_b32_e32 v4, 8, v4
	ds_write_b64 v4, v[1:2] offset:16
; %bb.27:
	s_or_b64 exec, exec, s[0:1]
	v_cmp_gt_u32_e32 vcc, 2, v0
	s_waitcnt lgkmcnt(0)
	s_barrier
	s_and_saveexec_b64 s[0:1], vcc
	s_cbranch_execz .LBB9_29
; %bb.28:
	v_lshlrev_b32_e32 v1, 3, v5
	ds_read_b64 v[1:2], v1 offset:16
	v_or_b32_e32 v4, 4, v3
	s_add_i32 s2, s2, 63
	v_and_b32_e32 v5, 1, v5
	s_lshr_b32 s2, s2, 6
	s_waitcnt lgkmcnt(0)
	ds_bpermute_b32 v3, v4, v1
	ds_bpermute_b32 v4, v4, v2
	v_add_u32_e32 v5, 1, v5
	v_cmp_gt_u32_e32 vcc, s2, v5
	s_waitcnt lgkmcnt(0)
	v_add_f64 v[3:4], v[1:2], v[3:4]
	v_cndmask_b32_e32 v2, v2, v4, vcc
	v_cndmask_b32_e32 v1, v1, v3, vcc
.LBB9_29:
	s_or_b64 exec, exec, s[0:1]
.LBB9_30:
	v_cmp_eq_u32_e32 vcc, 0, v0
	s_and_saveexec_b64 s[0:1], vcc
	s_cbranch_execnz .LBB9_32
; %bb.31:
	s_endpgm
.LBB9_32:
	v_add_f64 v[0:1], s[14:15], v[1:2]
	s_lshl_b64 s[0:1], s[6:7], 3
	s_add_u32 s0, s12, s0
	s_addc_u32 s1, s13, s1
	s_cmp_eq_u64 s[10:11], 0
	v_mov_b32_e32 v3, s15
	s_cselect_b64 vcc, -1, 0
	v_mov_b32_e32 v2, 0
	v_cndmask_b32_e32 v1, v1, v3, vcc
	v_mov_b32_e32 v3, s14
	v_cndmask_b32_e32 v0, v0, v3, vcc
	global_store_dwordx2 v2, v[0:1], s[0:1]
	s_endpgm
	.section	.rodata,"a",@progbits
	.p2align	6, 0x0
	.amdhsa_kernel _ZN7rocprim6detail19block_reduce_kernelILb1ELb0ELj1ENS0_21wrapped_reduce_configINS_14default_configEdEEdPdS5_dNS_4plusIdEEEEvT4_mT5_T6_T7_
		.amdhsa_group_segment_fixed_size 32
		.amdhsa_private_segment_fixed_size 0
		.amdhsa_kernarg_size 36
		.amdhsa_user_sgpr_count 6
		.amdhsa_user_sgpr_private_segment_buffer 1
		.amdhsa_user_sgpr_dispatch_ptr 0
		.amdhsa_user_sgpr_queue_ptr 0
		.amdhsa_user_sgpr_kernarg_segment_ptr 1
		.amdhsa_user_sgpr_dispatch_id 0
		.amdhsa_user_sgpr_flat_scratch_init 0
		.amdhsa_user_sgpr_private_segment_size 0
		.amdhsa_uses_dynamic_stack 0
		.amdhsa_system_sgpr_private_segment_wavefront_offset 0
		.amdhsa_system_sgpr_workgroup_id_x 1
		.amdhsa_system_sgpr_workgroup_id_y 0
		.amdhsa_system_sgpr_workgroup_id_z 0
		.amdhsa_system_sgpr_workgroup_info 0
		.amdhsa_system_vgpr_workitem_id 0
		.amdhsa_next_free_vgpr 20
		.amdhsa_next_free_sgpr 16
		.amdhsa_reserve_vcc 1
		.amdhsa_reserve_flat_scratch 0
		.amdhsa_float_round_mode_32 0
		.amdhsa_float_round_mode_16_64 0
		.amdhsa_float_denorm_mode_32 3
		.amdhsa_float_denorm_mode_16_64 3
		.amdhsa_dx10_clamp 1
		.amdhsa_ieee_mode 1
		.amdhsa_fp16_overflow 0
		.amdhsa_exception_fp_ieee_invalid_op 0
		.amdhsa_exception_fp_denorm_src 0
		.amdhsa_exception_fp_ieee_div_zero 0
		.amdhsa_exception_fp_ieee_overflow 0
		.amdhsa_exception_fp_ieee_underflow 0
		.amdhsa_exception_fp_ieee_inexact 0
		.amdhsa_exception_int_div_zero 0
	.end_amdhsa_kernel
	.section	.text._ZN7rocprim6detail19block_reduce_kernelILb1ELb0ELj1ENS0_21wrapped_reduce_configINS_14default_configEdEEdPdS5_dNS_4plusIdEEEEvT4_mT5_T6_T7_,"axG",@progbits,_ZN7rocprim6detail19block_reduce_kernelILb1ELb0ELj1ENS0_21wrapped_reduce_configINS_14default_configEdEEdPdS5_dNS_4plusIdEEEEvT4_mT5_T6_T7_,comdat
.Lfunc_end9:
	.size	_ZN7rocprim6detail19block_reduce_kernelILb1ELb0ELj1ENS0_21wrapped_reduce_configINS_14default_configEdEEdPdS5_dNS_4plusIdEEEEvT4_mT5_T6_T7_, .Lfunc_end9-_ZN7rocprim6detail19block_reduce_kernelILb1ELb0ELj1ENS0_21wrapped_reduce_configINS_14default_configEdEEdPdS5_dNS_4plusIdEEEEvT4_mT5_T6_T7_
                                        ; -- End function
	.set _ZN7rocprim6detail19block_reduce_kernelILb1ELb0ELj1ENS0_21wrapped_reduce_configINS_14default_configEdEEdPdS5_dNS_4plusIdEEEEvT4_mT5_T6_T7_.num_vgpr, 20
	.set _ZN7rocprim6detail19block_reduce_kernelILb1ELb0ELj1ENS0_21wrapped_reduce_configINS_14default_configEdEEdPdS5_dNS_4plusIdEEEEvT4_mT5_T6_T7_.num_agpr, 0
	.set _ZN7rocprim6detail19block_reduce_kernelILb1ELb0ELj1ENS0_21wrapped_reduce_configINS_14default_configEdEEdPdS5_dNS_4plusIdEEEEvT4_mT5_T6_T7_.numbered_sgpr, 16
	.set _ZN7rocprim6detail19block_reduce_kernelILb1ELb0ELj1ENS0_21wrapped_reduce_configINS_14default_configEdEEdPdS5_dNS_4plusIdEEEEvT4_mT5_T6_T7_.num_named_barrier, 0
	.set _ZN7rocprim6detail19block_reduce_kernelILb1ELb0ELj1ENS0_21wrapped_reduce_configINS_14default_configEdEEdPdS5_dNS_4plusIdEEEEvT4_mT5_T6_T7_.private_seg_size, 0
	.set _ZN7rocprim6detail19block_reduce_kernelILb1ELb0ELj1ENS0_21wrapped_reduce_configINS_14default_configEdEEdPdS5_dNS_4plusIdEEEEvT4_mT5_T6_T7_.uses_vcc, 1
	.set _ZN7rocprim6detail19block_reduce_kernelILb1ELb0ELj1ENS0_21wrapped_reduce_configINS_14default_configEdEEdPdS5_dNS_4plusIdEEEEvT4_mT5_T6_T7_.uses_flat_scratch, 0
	.set _ZN7rocprim6detail19block_reduce_kernelILb1ELb0ELj1ENS0_21wrapped_reduce_configINS_14default_configEdEEdPdS5_dNS_4plusIdEEEEvT4_mT5_T6_T7_.has_dyn_sized_stack, 0
	.set _ZN7rocprim6detail19block_reduce_kernelILb1ELb0ELj1ENS0_21wrapped_reduce_configINS_14default_configEdEEdPdS5_dNS_4plusIdEEEEvT4_mT5_T6_T7_.has_recursion, 0
	.set _ZN7rocprim6detail19block_reduce_kernelILb1ELb0ELj1ENS0_21wrapped_reduce_configINS_14default_configEdEEdPdS5_dNS_4plusIdEEEEvT4_mT5_T6_T7_.has_indirect_call, 0
	.section	.AMDGPU.csdata,"",@progbits
; Kernel info:
; codeLenInByte = 1420
; TotalNumSgprs: 20
; NumVgprs: 20
; ScratchSize: 0
; MemoryBound: 1
; FloatMode: 240
; IeeeMode: 1
; LDSByteSize: 32 bytes/workgroup (compile time only)
; SGPRBlocks: 2
; VGPRBlocks: 4
; NumSGPRsForWavesPerEU: 20
; NumVGPRsForWavesPerEU: 20
; Occupancy: 10
; WaveLimiterHint : 1
; COMPUTE_PGM_RSRC2:SCRATCH_EN: 0
; COMPUTE_PGM_RSRC2:USER_SGPR: 6
; COMPUTE_PGM_RSRC2:TRAP_HANDLER: 0
; COMPUTE_PGM_RSRC2:TGID_X_EN: 1
; COMPUTE_PGM_RSRC2:TGID_Y_EN: 0
; COMPUTE_PGM_RSRC2:TGID_Z_EN: 0
; COMPUTE_PGM_RSRC2:TIDIG_COMP_CNT: 0
	.section	.text._ZN8rajaperf9algorithm10reduce_sumILm256EEEvPdS2_dl,"axG",@progbits,_ZN8rajaperf9algorithm10reduce_sumILm256EEEvPdS2_dl,comdat
	.protected	_ZN8rajaperf9algorithm10reduce_sumILm256EEEvPdS2_dl ; -- Begin function _ZN8rajaperf9algorithm10reduce_sumILm256EEEvPdS2_dl
	.globl	_ZN8rajaperf9algorithm10reduce_sumILm256EEEvPdS2_dl
	.p2align	8
	.type	_ZN8rajaperf9algorithm10reduce_sumILm256EEEvPdS2_dl,@function
_ZN8rajaperf9algorithm10reduce_sumILm256EEEvPdS2_dl: ; @_ZN8rajaperf9algorithm10reduce_sumILm256EEEvPdS2_dl
; %bb.0:
	s_load_dwordx8 s[8:15], s[4:5], 0x0
	s_mov_b32 s7, 0
	s_lshl_b64 s[0:1], s[6:7], 8
	v_or_b32_e32 v1, s0, v0
	v_mov_b32_e32 v2, s1
	s_waitcnt lgkmcnt(0)
	v_mov_b32_e32 v3, s12
	v_cmp_gt_i64_e32 vcc, s[14:15], v[1:2]
	v_lshl_add_u32 v7, v0, 3, 0
	v_mov_b32_e32 v4, s13
	ds_write_b64 v7, v[3:4]
	s_and_saveexec_b64 s[2:3], vcc
	s_cbranch_execz .LBB10_4
; %bb.1:
	s_load_dword s0, s[4:5], 0x20
	s_mov_b32 s1, s7
	s_lshl_b64 s[6:7], s[6:7], 11
	v_lshlrev_b32_e32 v3, 3, v0
	v_mov_b32_e32 v5, s12
	s_waitcnt lgkmcnt(0)
	s_lshl_b64 s[4:5], s[0:1], 8
	s_add_u32 s6, s8, s6
	s_addc_u32 s7, s9, s7
	v_mov_b32_e32 v4, s7
	v_add_co_u32_e32 v3, vcc, s6, v3
	s_lshl_b64 s[8:9], s[0:1], 11
	v_addc_co_u32_e32 v4, vcc, 0, v4, vcc
	s_mov_b64 s[6:7], 0
	v_mov_b32_e32 v6, s13
	v_mov_b32_e32 v8, s5
	;; [unrolled: 1-line block ×3, first 2 shown]
.LBB10_2:                               ; =>This Inner Loop Header: Depth=1
	global_load_dwordx2 v[10:11], v[3:4], off
	v_add_co_u32_e32 v1, vcc, s4, v1
	v_addc_co_u32_e32 v2, vcc, v2, v8, vcc
	v_cmp_le_i64_e64 s[0:1], s[14:15], v[1:2]
	v_add_co_u32_e32 v3, vcc, s8, v3
	s_or_b64 s[6:7], s[0:1], s[6:7]
	v_addc_co_u32_e32 v4, vcc, v4, v9, vcc
	s_waitcnt vmcnt(0)
	v_add_f64 v[5:6], v[10:11], v[5:6]
	s_andn2_b64 exec, exec, s[6:7]
	s_cbranch_execnz .LBB10_2
; %bb.3:
	s_or_b64 exec, exec, s[6:7]
	ds_write_b64 v7, v[5:6]
.LBB10_4:
	s_or_b64 exec, exec, s[2:3]
	s_movk_i32 s0, 0x80
	v_cmp_gt_u32_e32 vcc, s0, v0
	s_waitcnt lgkmcnt(0)
	s_barrier
	s_and_saveexec_b64 s[0:1], vcc
	s_cbranch_execz .LBB10_6
; %bb.5:
	ds_read2st64_b64 v[1:4], v7 offset1:2
	s_waitcnt lgkmcnt(0)
	v_add_f64 v[1:2], v[3:4], v[1:2]
	ds_write_b64 v7, v[1:2]
.LBB10_6:
	s_or_b64 exec, exec, s[0:1]
	v_cmp_gt_u32_e32 vcc, 64, v0
	s_waitcnt lgkmcnt(0)
	s_barrier
	s_and_saveexec_b64 s[0:1], vcc
	s_cbranch_execz .LBB10_8
; %bb.7:
	ds_read2st64_b64 v[1:4], v7 offset1:1
	s_waitcnt lgkmcnt(0)
	v_add_f64 v[1:2], v[3:4], v[1:2]
	ds_write_b64 v7, v[1:2]
.LBB10_8:
	s_or_b64 exec, exec, s[0:1]
	v_cmp_gt_u32_e32 vcc, 32, v0
	s_waitcnt lgkmcnt(0)
	s_barrier
	s_and_saveexec_b64 s[0:1], vcc
	s_cbranch_execz .LBB10_10
; %bb.9:
	ds_read2_b64 v[1:4], v7 offset1:32
	s_waitcnt lgkmcnt(0)
	v_add_f64 v[1:2], v[3:4], v[1:2]
	ds_write_b64 v7, v[1:2]
.LBB10_10:
	s_or_b64 exec, exec, s[0:1]
	v_cmp_gt_u32_e32 vcc, 16, v0
	s_waitcnt lgkmcnt(0)
	s_barrier
	s_and_saveexec_b64 s[0:1], vcc
	s_cbranch_execz .LBB10_12
; %bb.11:
	ds_read2_b64 v[1:4], v7 offset1:16
	s_waitcnt lgkmcnt(0)
	v_add_f64 v[1:2], v[3:4], v[1:2]
	ds_write_b64 v7, v[1:2]
.LBB10_12:
	;; [unrolled: 12-line block ×5, first 2 shown]
	s_or_b64 exec, exec, s[0:1]
	v_cmp_eq_u32_e32 vcc, 0, v0
	s_waitcnt lgkmcnt(0)
	s_barrier
	s_and_saveexec_b64 s[0:1], vcc
	s_cbranch_execz .LBB10_20
; %bb.19:
	ds_read2_b64 v[0:3], v7 offset1:1
	s_waitcnt lgkmcnt(0)
	v_add_f64 v[0:1], v[2:3], v[0:1]
	ds_write_b64 v7, v[0:1]
.LBB10_20:
	s_or_b64 exec, exec, s[0:1]
	s_waitcnt lgkmcnt(0)
	s_barrier
	s_and_saveexec_b64 s[0:1], vcc
	s_cbranch_execz .LBB10_24
; %bb.21:
	s_mov_b64 s[0:1], exec
	v_mbcnt_lo_u32_b32 v0, s0, 0
	v_mbcnt_hi_u32_b32 v0, s1, v0
	v_cmp_eq_u32_e32 vcc, 0, v0
	s_and_b64 s[2:3], exec, vcc
	s_mov_b64 exec, s[2:3]
	s_cbranch_execz .LBB10_24
; %bb.22:
	v_mov_b32_e32 v6, 0
	ds_read_b64 v[0:1], v6
	s_bcnt1_i32_b64 s0, s[0:1]
	v_cvt_f64_u32_e32 v[2:3], s0
	s_load_dwordx2 s[2:3], s[10:11], 0x0
	s_mov_b64 s[0:1], 0
	s_waitcnt lgkmcnt(0)
	v_mul_f64 v[4:5], v[0:1], v[2:3]
	v_mov_b32_e32 v2, s2
	v_mov_b32_e32 v3, s3
.LBB10_23:                              ; =>This Inner Loop Header: Depth=1
	v_add_f64 v[0:1], v[2:3], v[4:5]
	global_atomic_cmpswap_x2 v[0:1], v6, v[0:3], s[10:11] glc
	s_waitcnt vmcnt(0)
	v_cmp_eq_u64_e32 vcc, v[0:1], v[2:3]
	v_mov_b32_e32 v3, v1
	s_or_b64 s[0:1], vcc, s[0:1]
	v_mov_b32_e32 v2, v0
	s_andn2_b64 exec, exec, s[0:1]
	s_cbranch_execnz .LBB10_23
.LBB10_24:
	s_endpgm
	.section	.rodata,"a",@progbits
	.p2align	6, 0x0
	.amdhsa_kernel _ZN8rajaperf9algorithm10reduce_sumILm256EEEvPdS2_dl
		.amdhsa_group_segment_fixed_size 0
		.amdhsa_private_segment_fixed_size 0
		.amdhsa_kernarg_size 288
		.amdhsa_user_sgpr_count 6
		.amdhsa_user_sgpr_private_segment_buffer 1
		.amdhsa_user_sgpr_dispatch_ptr 0
		.amdhsa_user_sgpr_queue_ptr 0
		.amdhsa_user_sgpr_kernarg_segment_ptr 1
		.amdhsa_user_sgpr_dispatch_id 0
		.amdhsa_user_sgpr_flat_scratch_init 0
		.amdhsa_user_sgpr_private_segment_size 0
		.amdhsa_uses_dynamic_stack 0
		.amdhsa_system_sgpr_private_segment_wavefront_offset 0
		.amdhsa_system_sgpr_workgroup_id_x 1
		.amdhsa_system_sgpr_workgroup_id_y 0
		.amdhsa_system_sgpr_workgroup_id_z 0
		.amdhsa_system_sgpr_workgroup_info 0
		.amdhsa_system_vgpr_workitem_id 0
		.amdhsa_next_free_vgpr 12
		.amdhsa_next_free_sgpr 16
		.amdhsa_reserve_vcc 1
		.amdhsa_reserve_flat_scratch 0
		.amdhsa_float_round_mode_32 0
		.amdhsa_float_round_mode_16_64 0
		.amdhsa_float_denorm_mode_32 3
		.amdhsa_float_denorm_mode_16_64 3
		.amdhsa_dx10_clamp 1
		.amdhsa_ieee_mode 1
		.amdhsa_fp16_overflow 0
		.amdhsa_exception_fp_ieee_invalid_op 0
		.amdhsa_exception_fp_denorm_src 0
		.amdhsa_exception_fp_ieee_div_zero 0
		.amdhsa_exception_fp_ieee_overflow 0
		.amdhsa_exception_fp_ieee_underflow 0
		.amdhsa_exception_fp_ieee_inexact 0
		.amdhsa_exception_int_div_zero 0
	.end_amdhsa_kernel
	.section	.text._ZN8rajaperf9algorithm10reduce_sumILm256EEEvPdS2_dl,"axG",@progbits,_ZN8rajaperf9algorithm10reduce_sumILm256EEEvPdS2_dl,comdat
.Lfunc_end10:
	.size	_ZN8rajaperf9algorithm10reduce_sumILm256EEEvPdS2_dl, .Lfunc_end10-_ZN8rajaperf9algorithm10reduce_sumILm256EEEvPdS2_dl
                                        ; -- End function
	.set _ZN8rajaperf9algorithm10reduce_sumILm256EEEvPdS2_dl.num_vgpr, 12
	.set _ZN8rajaperf9algorithm10reduce_sumILm256EEEvPdS2_dl.num_agpr, 0
	.set _ZN8rajaperf9algorithm10reduce_sumILm256EEEvPdS2_dl.numbered_sgpr, 16
	.set _ZN8rajaperf9algorithm10reduce_sumILm256EEEvPdS2_dl.num_named_barrier, 0
	.set _ZN8rajaperf9algorithm10reduce_sumILm256EEEvPdS2_dl.private_seg_size, 0
	.set _ZN8rajaperf9algorithm10reduce_sumILm256EEEvPdS2_dl.uses_vcc, 1
	.set _ZN8rajaperf9algorithm10reduce_sumILm256EEEvPdS2_dl.uses_flat_scratch, 0
	.set _ZN8rajaperf9algorithm10reduce_sumILm256EEEvPdS2_dl.has_dyn_sized_stack, 0
	.set _ZN8rajaperf9algorithm10reduce_sumILm256EEEvPdS2_dl.has_recursion, 0
	.set _ZN8rajaperf9algorithm10reduce_sumILm256EEEvPdS2_dl.has_indirect_call, 0
	.section	.AMDGPU.csdata,"",@progbits
; Kernel info:
; codeLenInByte = 780
; TotalNumSgprs: 20
; NumVgprs: 12
; ScratchSize: 0
; MemoryBound: 0
; FloatMode: 240
; IeeeMode: 1
; LDSByteSize: 0 bytes/workgroup (compile time only)
; SGPRBlocks: 2
; VGPRBlocks: 2
; NumSGPRsForWavesPerEU: 20
; NumVGPRsForWavesPerEU: 12
; Occupancy: 10
; WaveLimiterHint : 0
; COMPUTE_PGM_RSRC2:SCRATCH_EN: 0
; COMPUTE_PGM_RSRC2:USER_SGPR: 6
; COMPUTE_PGM_RSRC2:TRAP_HANDLER: 0
; COMPUTE_PGM_RSRC2:TGID_X_EN: 1
; COMPUTE_PGM_RSRC2:TGID_Y_EN: 0
; COMPUTE_PGM_RSRC2:TGID_Z_EN: 0
; COMPUTE_PGM_RSRC2:TIDIG_COMP_CNT: 0
	.section	.text._ZN4RAJA6policy3hip4impl18forallp_hip_kernelINS1_8hip_execINS_17iteration_mapping6DirectENS_3hip11IndexGlobalILNS_9named_dimE0ELi256ELi0EEENS7_40AvoidDeviceMaxThreadOccupancyConcretizerINS7_34FractionOffsetOccupancyConcretizerINS_8FractionImLm1ELm1EEELln1EEEEELb1EEENS_9Iterators16numeric_iteratorIllPlEEZN8rajaperf9algorithm10REDUCE_SUM17runHipVariantRAJAILm256ENSM_13gpu_algorithm19block_atomic_helperENSM_11gpu_mapping20global_direct_helperEEEvNSM_9VariantIDEEUllE_lNS_4expt15ForallParamPackIJEEES6_SA_TnNSt9enable_ifIXaasr3std10is_base_ofINS5_10DirectBaseET4_EE5valuegtsrT5_10block_sizeLi0EEmE4typeELm256EEEvT1_T0_T2_T3_,"axG",@progbits,_ZN4RAJA6policy3hip4impl18forallp_hip_kernelINS1_8hip_execINS_17iteration_mapping6DirectENS_3hip11IndexGlobalILNS_9named_dimE0ELi256ELi0EEENS7_40AvoidDeviceMaxThreadOccupancyConcretizerINS7_34FractionOffsetOccupancyConcretizerINS_8FractionImLm1ELm1EEELln1EEEEELb1EEENS_9Iterators16numeric_iteratorIllPlEEZN8rajaperf9algorithm10REDUCE_SUM17runHipVariantRAJAILm256ENSM_13gpu_algorithm19block_atomic_helperENSM_11gpu_mapping20global_direct_helperEEEvNSM_9VariantIDEEUllE_lNS_4expt15ForallParamPackIJEEES6_SA_TnNSt9enable_ifIXaasr3std10is_base_ofINS5_10DirectBaseET4_EE5valuegtsrT5_10block_sizeLi0EEmE4typeELm256EEEvT1_T0_T2_T3_,comdat
	.protected	_ZN4RAJA6policy3hip4impl18forallp_hip_kernelINS1_8hip_execINS_17iteration_mapping6DirectENS_3hip11IndexGlobalILNS_9named_dimE0ELi256ELi0EEENS7_40AvoidDeviceMaxThreadOccupancyConcretizerINS7_34FractionOffsetOccupancyConcretizerINS_8FractionImLm1ELm1EEELln1EEEEELb1EEENS_9Iterators16numeric_iteratorIllPlEEZN8rajaperf9algorithm10REDUCE_SUM17runHipVariantRAJAILm256ENSM_13gpu_algorithm19block_atomic_helperENSM_11gpu_mapping20global_direct_helperEEEvNSM_9VariantIDEEUllE_lNS_4expt15ForallParamPackIJEEES6_SA_TnNSt9enable_ifIXaasr3std10is_base_ofINS5_10DirectBaseET4_EE5valuegtsrT5_10block_sizeLi0EEmE4typeELm256EEEvT1_T0_T2_T3_ ; -- Begin function _ZN4RAJA6policy3hip4impl18forallp_hip_kernelINS1_8hip_execINS_17iteration_mapping6DirectENS_3hip11IndexGlobalILNS_9named_dimE0ELi256ELi0EEENS7_40AvoidDeviceMaxThreadOccupancyConcretizerINS7_34FractionOffsetOccupancyConcretizerINS_8FractionImLm1ELm1EEELln1EEEEELb1EEENS_9Iterators16numeric_iteratorIllPlEEZN8rajaperf9algorithm10REDUCE_SUM17runHipVariantRAJAILm256ENSM_13gpu_algorithm19block_atomic_helperENSM_11gpu_mapping20global_direct_helperEEEvNSM_9VariantIDEEUllE_lNS_4expt15ForallParamPackIJEEES6_SA_TnNSt9enable_ifIXaasr3std10is_base_ofINS5_10DirectBaseET4_EE5valuegtsrT5_10block_sizeLi0EEmE4typeELm256EEEvT1_T0_T2_T3_
	.globl	_ZN4RAJA6policy3hip4impl18forallp_hip_kernelINS1_8hip_execINS_17iteration_mapping6DirectENS_3hip11IndexGlobalILNS_9named_dimE0ELi256ELi0EEENS7_40AvoidDeviceMaxThreadOccupancyConcretizerINS7_34FractionOffsetOccupancyConcretizerINS_8FractionImLm1ELm1EEELln1EEEEELb1EEENS_9Iterators16numeric_iteratorIllPlEEZN8rajaperf9algorithm10REDUCE_SUM17runHipVariantRAJAILm256ENSM_13gpu_algorithm19block_atomic_helperENSM_11gpu_mapping20global_direct_helperEEEvNSM_9VariantIDEEUllE_lNS_4expt15ForallParamPackIJEEES6_SA_TnNSt9enable_ifIXaasr3std10is_base_ofINS5_10DirectBaseET4_EE5valuegtsrT5_10block_sizeLi0EEmE4typeELm256EEEvT1_T0_T2_T3_
	.p2align	8
	.type	_ZN4RAJA6policy3hip4impl18forallp_hip_kernelINS1_8hip_execINS_17iteration_mapping6DirectENS_3hip11IndexGlobalILNS_9named_dimE0ELi256ELi0EEENS7_40AvoidDeviceMaxThreadOccupancyConcretizerINS7_34FractionOffsetOccupancyConcretizerINS_8FractionImLm1ELm1EEELln1EEEEELb1EEENS_9Iterators16numeric_iteratorIllPlEEZN8rajaperf9algorithm10REDUCE_SUM17runHipVariantRAJAILm256ENSM_13gpu_algorithm19block_atomic_helperENSM_11gpu_mapping20global_direct_helperEEEvNSM_9VariantIDEEUllE_lNS_4expt15ForallParamPackIJEEES6_SA_TnNSt9enable_ifIXaasr3std10is_base_ofINS5_10DirectBaseET4_EE5valuegtsrT5_10block_sizeLi0EEmE4typeELm256EEEvT1_T0_T2_T3_,@function
_ZN4RAJA6policy3hip4impl18forallp_hip_kernelINS1_8hip_execINS_17iteration_mapping6DirectENS_3hip11IndexGlobalILNS_9named_dimE0ELi256ELi0EEENS7_40AvoidDeviceMaxThreadOccupancyConcretizerINS7_34FractionOffsetOccupancyConcretizerINS_8FractionImLm1ELm1EEELln1EEEEELb1EEENS_9Iterators16numeric_iteratorIllPlEEZN8rajaperf9algorithm10REDUCE_SUM17runHipVariantRAJAILm256ENSM_13gpu_algorithm19block_atomic_helperENSM_11gpu_mapping20global_direct_helperEEEvNSM_9VariantIDEEUllE_lNS_4expt15ForallParamPackIJEEES6_SA_TnNSt9enable_ifIXaasr3std10is_base_ofINS5_10DirectBaseET4_EE5valuegtsrT5_10block_sizeLi0EEmE4typeELm256EEEvT1_T0_T2_T3_: ; @_ZN4RAJA6policy3hip4impl18forallp_hip_kernelINS1_8hip_execINS_17iteration_mapping6DirectENS_3hip11IndexGlobalILNS_9named_dimE0ELi256ELi0EEENS7_40AvoidDeviceMaxThreadOccupancyConcretizerINS7_34FractionOffsetOccupancyConcretizerINS_8FractionImLm1ELm1EEELln1EEEEELb1EEENS_9Iterators16numeric_iteratorIllPlEEZN8rajaperf9algorithm10REDUCE_SUM17runHipVariantRAJAILm256ENSM_13gpu_algorithm19block_atomic_helperENSM_11gpu_mapping20global_direct_helperEEEvNSM_9VariantIDEEUllE_lNS_4expt15ForallParamPackIJEEES6_SA_TnNSt9enable_ifIXaasr3std10is_base_ofINS5_10DirectBaseET4_EE5valuegtsrT5_10block_sizeLi0EEmE4typeELm256EEEvT1_T0_T2_T3_
; %bb.0:
	s_load_dwordx4 s[12:15], s[4:5], 0x0
	s_load_dwordx2 s[2:3], s[4:5], 0x18
	s_load_dwordx4 s[16:19], s[4:5], 0x30
	s_mov_b32 s0, s7
	s_mov_b32 s7, 0
	s_lshl_b64 s[10:11], s[6:7], 8
	v_or_b32_e32 v5, s10, v0
	v_mov_b32_e32 v6, s11
	s_waitcnt lgkmcnt(0)
	v_cmp_gt_i64_e32 vcc, s[18:19], v[5:6]
	v_mov_b32_e32 v4, s3
	v_mov_b32_e32 v3, s2
	s_and_saveexec_b64 s[10:11], vcc
	s_cbranch_execz .LBB11_2
; %bb.1:
	s_load_dwordx2 s[18:19], s[4:5], 0x28
	v_lshlrev_b64 v[3:4], 3, v[5:6]
	s_lshl_b64 s[16:17], s[16:17], 3
	s_waitcnt lgkmcnt(0)
	v_mov_b32_e32 v5, s19
	v_add_co_u32_e32 v3, vcc, s18, v3
	v_addc_co_u32_e32 v4, vcc, v5, v4, vcc
	v_mov_b32_e32 v5, s17
	v_add_co_u32_e32 v3, vcc, s16, v3
	v_addc_co_u32_e32 v4, vcc, v4, v5, vcc
	global_load_dwordx2 v[3:4], v[3:4], off
	s_waitcnt vmcnt(0)
	v_add_f64 v[3:4], s[2:3], v[3:4]
.LBB11_2:
	s_or_b64 exec, exec, s[10:11]
	s_cmp_lg_u64 s[12:13], 0
	s_cbranch_scc1 .LBB11_17
; %bb.3:
	s_load_dwordx2 s[10:11], s[4:5], 0x48
	s_add_u32 s1, s4, 0x48
	v_mov_b32_e32 v5, 0
	s_addc_u32 s7, s5, 0
	global_load_dword v6, v5, s[4:5] offset:86
	s_waitcnt lgkmcnt(0)
	s_cmp_lt_u32 s6, s10
	s_cselect_b32 s4, 12, 18
	s_add_u32 s4, s1, s4
	s_addc_u32 s5, s7, 0
	global_load_ushort v5, v5, s[4:5]
	v_mbcnt_lo_u32_b32 v9, -1, 0
	v_mbcnt_hi_u32_b32 v9, -1, v9
	s_waitcnt vmcnt(1)
	v_readfirstlane_b32 s1, v6
	s_lshr_b32 s4, s1, 16
	s_and_b32 s1, s1, 0xffff
	s_waitcnt vmcnt(0)
	v_readfirstlane_b32 s5, v5
	s_mul_i32 s1, s1, s5
	v_mul_lo_u32 v8, s1, v2
	v_mad_u32_u24 v7, v1, v5, v0
	s_mul_i32 s4, s1, s4
	s_ashr_i32 s5, s4, 31
	s_and_b32 s1, s4, 63
	v_add_u32_e32 v2, v8, v7
	s_cmp_eq_u32 s1, 0
	v_ashrrev_i32_e32 v1, 31, v2
	s_cbranch_scc1 .LBB11_18
; %bb.4:
	v_and_b32_e32 v0, 64, v9
	v_xor_b32_e32 v10, 1, v2
	v_and_or_b32 v5, v10, 63, v0
	v_lshlrev_b32_e32 v6, 2, v5
	ds_bpermute_b32 v5, v6, v3
	ds_bpermute_b32 v6, v6, v4
	v_xor_b32_e32 v12, 2, v2
	v_and_or_b32 v11, v12, 63, v0
	v_cmp_gt_i32_e32 vcc, s4, v10
	v_lshlrev_b32_e32 v11, 2, v11
	s_waitcnt lgkmcnt(0)
	v_add_f64 v[5:6], v[3:4], v[5:6]
	v_xor_b32_e32 v13, 4, v2
	v_and_or_b32 v14, v13, 63, v0
	v_lshlrev_b32_e32 v14, 2, v14
	v_cndmask_b32_e32 v6, v4, v6, vcc
	v_cndmask_b32_e32 v5, v3, v5, vcc
	ds_bpermute_b32 v10, v11, v5
	ds_bpermute_b32 v11, v11, v6
	v_cmp_gt_i32_e32 vcc, s4, v12
	v_xor_b32_e32 v12, 8, v2
	s_waitcnt lgkmcnt(0)
	v_add_f64 v[10:11], v[5:6], v[10:11]
	v_cndmask_b32_e32 v6, v6, v11, vcc
	v_cndmask_b32_e32 v5, v5, v10, vcc
	ds_bpermute_b32 v10, v14, v5
	ds_bpermute_b32 v11, v14, v6
	v_and_or_b32 v14, v12, 63, v0
	v_cmp_gt_i32_e32 vcc, s4, v13
	v_lshlrev_b32_e32 v14, 2, v14
	v_xor_b32_e32 v13, 16, v2
	s_waitcnt lgkmcnt(0)
	v_add_f64 v[10:11], v[5:6], v[10:11]
	v_cndmask_b32_e32 v6, v6, v11, vcc
	v_cndmask_b32_e32 v5, v5, v10, vcc
	ds_bpermute_b32 v10, v14, v5
	ds_bpermute_b32 v11, v14, v6
	v_and_or_b32 v14, v13, 63, v0
	v_cmp_gt_i32_e32 vcc, s4, v12
	v_lshlrev_b32_e32 v14, 2, v14
	v_xor_b32_e32 v12, 32, v2
	s_waitcnt lgkmcnt(0)
	v_add_f64 v[10:11], v[5:6], v[10:11]
	v_and_or_b32 v0, v12, 63, v0
	v_lshlrev_b32_e32 v0, 2, v0
	v_cndmask_b32_e32 v6, v6, v11, vcc
	v_cndmask_b32_e32 v5, v5, v10, vcc
	ds_bpermute_b32 v10, v14, v5
	ds_bpermute_b32 v11, v14, v6
	v_cmp_gt_i32_e32 vcc, s4, v13
	s_waitcnt lgkmcnt(0)
	v_add_f64 v[10:11], v[5:6], v[10:11]
	v_cndmask_b32_e32 v6, v6, v11, vcc
	v_cndmask_b32_e32 v5, v5, v10, vcc
	ds_bpermute_b32 v10, v0, v5
	ds_bpermute_b32 v11, v0, v6
	v_cmp_gt_i32_e32 vcc, s4, v12
	s_waitcnt lgkmcnt(0)
	v_add_f64 v[10:11], v[5:6], v[10:11]
	v_cndmask_b32_e32 v6, v6, v11, vcc
	v_cndmask_b32_e32 v5, v5, v10, vcc
	s_cbranch_execnz .LBB11_6
.LBB11_5:
	v_and_b32_e32 v0, 64, v9
	v_add_u32_e32 v0, 64, v0
	v_xor_b32_e32 v5, 1, v9
	v_cmp_lt_i32_e32 vcc, v5, v0
	v_cndmask_b32_e32 v5, v9, v5, vcc
	v_lshlrev_b32_e32 v6, 2, v5
	ds_bpermute_b32 v5, v6, v3
	ds_bpermute_b32 v6, v6, v4
	s_waitcnt lgkmcnt(0)
	v_add_f64 v[3:4], v[3:4], v[5:6]
	v_xor_b32_e32 v5, 2, v9
	v_cmp_lt_i32_e32 vcc, v5, v0
	v_cndmask_b32_e32 v5, v9, v5, vcc
	v_lshlrev_b32_e32 v6, 2, v5
	ds_bpermute_b32 v5, v6, v3
	ds_bpermute_b32 v6, v6, v4
	s_waitcnt lgkmcnt(0)
	v_add_f64 v[3:4], v[3:4], v[5:6]
	;; [unrolled: 8-line block ×6, first 2 shown]
.LBB11_6:
	s_cmpk_lt_i32 s4, 0x41
	s_cbranch_scc1 .LBB11_14
; %bb.7:
	v_lshrrev_b32_e32 v0, 26, v1
	v_add_u32_e32 v3, v2, v0
	v_and_b32_e32 v0, 0xffffffc0, v3
	v_sub_u32_e32 v0, v2, v0
	v_cmp_eq_u32_e32 vcc, 0, v0
	s_and_saveexec_b64 s[12:13], vcc
; %bb.8:
	v_ashrrev_i32_e32 v3, 6, v3
	v_lshlrev_b32_e32 v3, 3, v3
	ds_write_b64 v3, v[5:6]
; %bb.9:
	s_or_b64 exec, exec, s[12:13]
	v_add_co_u32_e32 v2, vcc, 63, v2
	v_addc_co_u32_e32 v3, vcc, 0, v1, vcc
	s_mov_b64 s[12:13], 0x7f
	v_cmp_gt_u64_e32 vcc, s[12:13], v[2:3]
	s_waitcnt lgkmcnt(0)
	s_barrier
	s_and_saveexec_b64 s[12:13], vcc
	s_cbranch_execz .LBB11_13
; %bb.10:
	v_ashrrev_i32_e32 v1, 31, v0
	v_lshlrev_b64 v[1:2], 6, v[0:1]
	v_cmp_gt_i64_e32 vcc, s[4:5], v[1:2]
	v_mov_b32_e32 v1, s2
	v_mov_b32_e32 v2, s3
	s_and_saveexec_b64 s[4:5], vcc
; %bb.11:
	v_lshlrev_b32_e32 v0, 3, v0
	ds_read_b64 v[1:2], v0
; %bb.12:
	s_or_b64 exec, exec, s[4:5]
	v_and_b32_e32 v0, 64, v9
	v_add_u32_e32 v5, 64, v0
	v_xor_b32_e32 v0, 1, v9
	v_cmp_lt_i32_e32 vcc, v0, v5
	v_cndmask_b32_e32 v0, v9, v0, vcc
	v_lshlrev_b32_e32 v0, 2, v0
	s_waitcnt lgkmcnt(0)
	ds_bpermute_b32 v3, v0, v1
	ds_bpermute_b32 v4, v0, v2
	s_waitcnt lgkmcnt(0)
	v_add_f64 v[0:1], v[1:2], v[3:4]
	v_xor_b32_e32 v2, 2, v9
	v_cmp_lt_i32_e32 vcc, v2, v5
	v_cndmask_b32_e32 v2, v9, v2, vcc
	v_lshlrev_b32_e32 v3, 2, v2
	ds_bpermute_b32 v2, v3, v0
	ds_bpermute_b32 v3, v3, v1
	s_waitcnt lgkmcnt(0)
	v_add_f64 v[0:1], v[0:1], v[2:3]
	v_xor_b32_e32 v2, 4, v9
	v_cmp_lt_i32_e32 vcc, v2, v5
	v_cndmask_b32_e32 v2, v9, v2, vcc
	v_lshlrev_b32_e32 v3, 2, v2
	;; [unrolled: 8-line block ×3, first 2 shown]
	ds_bpermute_b32 v2, v3, v0
	ds_bpermute_b32 v3, v3, v1
	s_waitcnt lgkmcnt(0)
	v_add_f64 v[5:6], v[0:1], v[2:3]
.LBB11_13:
	s_or_b64 exec, exec, s[12:13]
	s_barrier
.LBB11_14:
	v_cmp_neq_f64_e32 vcc, s[2:3], v[5:6]
	v_sub_u32_e32 v0, 0, v8
	v_cmp_eq_u32_e64 s[2:3], v7, v0
	s_and_b64 s[2:3], s[2:3], vcc
	s_and_saveexec_b64 s[4:5], s[2:3]
	s_cbranch_execz .LBB11_17
; %bb.15:
	s_mul_i32 s1, s11, s8
	s_add_i32 s0, s1, s0
	s_mul_i32 s0, s0, s10
	s_add_i32 s0, s0, s6
	s_ashr_i32 s1, s0, 31
	s_lshr_b32 s1, s1, 27
	s_add_i32 s1, s0, s1
	s_and_b32 s1, s1, 0x1fffffe0
	s_sub_i32 s0, s0, s1
	s_lshl_b32 s0, s0, 3
	s_ashr_i32 s1, s0, 31
	s_lshl_b64 s[0:1], s[0:1], 3
	s_add_u32 s0, s14, s0
	s_addc_u32 s1, s15, s1
	v_mov_b32_e32 v8, s1
	v_mov_b32_e32 v7, s0
	flat_load_dwordx2 v[2:3], v[7:8]
	s_mov_b64 s[0:1], 0
.LBB11_16:                              ; =>This Inner Loop Header: Depth=1
	s_waitcnt vmcnt(0) lgkmcnt(0)
	v_add_f64 v[0:1], v[2:3], v[5:6]
	flat_atomic_cmpswap_x2 v[0:1], v[7:8], v[0:3] glc
	s_waitcnt vmcnt(0) lgkmcnt(0)
	v_cmp_eq_u64_e32 vcc, v[0:1], v[2:3]
	v_mov_b32_e32 v3, v1
	s_or_b64 s[0:1], vcc, s[0:1]
	v_mov_b32_e32 v2, v0
	s_andn2_b64 exec, exec, s[0:1]
	s_cbranch_execnz .LBB11_16
.LBB11_17:
	s_endpgm
.LBB11_18:
                                        ; implicit-def: $vgpr5_vgpr6
	s_branch .LBB11_5
	.section	.rodata,"a",@progbits
	.p2align	6, 0x0
	.amdhsa_kernel _ZN4RAJA6policy3hip4impl18forallp_hip_kernelINS1_8hip_execINS_17iteration_mapping6DirectENS_3hip11IndexGlobalILNS_9named_dimE0ELi256ELi0EEENS7_40AvoidDeviceMaxThreadOccupancyConcretizerINS7_34FractionOffsetOccupancyConcretizerINS_8FractionImLm1ELm1EEELln1EEEEELb1EEENS_9Iterators16numeric_iteratorIllPlEEZN8rajaperf9algorithm10REDUCE_SUM17runHipVariantRAJAILm256ENSM_13gpu_algorithm19block_atomic_helperENSM_11gpu_mapping20global_direct_helperEEEvNSM_9VariantIDEEUllE_lNS_4expt15ForallParamPackIJEEES6_SA_TnNSt9enable_ifIXaasr3std10is_base_ofINS5_10DirectBaseET4_EE5valuegtsrT5_10block_sizeLi0EEmE4typeELm256EEEvT1_T0_T2_T3_
		.amdhsa_group_segment_fixed_size 128
		.amdhsa_private_segment_fixed_size 0
		.amdhsa_kernarg_size 328
		.amdhsa_user_sgpr_count 6
		.amdhsa_user_sgpr_private_segment_buffer 1
		.amdhsa_user_sgpr_dispatch_ptr 0
		.amdhsa_user_sgpr_queue_ptr 0
		.amdhsa_user_sgpr_kernarg_segment_ptr 1
		.amdhsa_user_sgpr_dispatch_id 0
		.amdhsa_user_sgpr_flat_scratch_init 0
		.amdhsa_user_sgpr_private_segment_size 0
		.amdhsa_uses_dynamic_stack 0
		.amdhsa_system_sgpr_private_segment_wavefront_offset 0
		.amdhsa_system_sgpr_workgroup_id_x 1
		.amdhsa_system_sgpr_workgroup_id_y 1
		.amdhsa_system_sgpr_workgroup_id_z 1
		.amdhsa_system_sgpr_workgroup_info 0
		.amdhsa_system_vgpr_workitem_id 2
		.amdhsa_next_free_vgpr 15
		.amdhsa_next_free_sgpr 20
		.amdhsa_reserve_vcc 1
		.amdhsa_reserve_flat_scratch 0
		.amdhsa_float_round_mode_32 0
		.amdhsa_float_round_mode_16_64 0
		.amdhsa_float_denorm_mode_32 3
		.amdhsa_float_denorm_mode_16_64 3
		.amdhsa_dx10_clamp 1
		.amdhsa_ieee_mode 1
		.amdhsa_fp16_overflow 0
		.amdhsa_exception_fp_ieee_invalid_op 0
		.amdhsa_exception_fp_denorm_src 0
		.amdhsa_exception_fp_ieee_div_zero 0
		.amdhsa_exception_fp_ieee_overflow 0
		.amdhsa_exception_fp_ieee_underflow 0
		.amdhsa_exception_fp_ieee_inexact 0
		.amdhsa_exception_int_div_zero 0
	.end_amdhsa_kernel
	.section	.text._ZN4RAJA6policy3hip4impl18forallp_hip_kernelINS1_8hip_execINS_17iteration_mapping6DirectENS_3hip11IndexGlobalILNS_9named_dimE0ELi256ELi0EEENS7_40AvoidDeviceMaxThreadOccupancyConcretizerINS7_34FractionOffsetOccupancyConcretizerINS_8FractionImLm1ELm1EEELln1EEEEELb1EEENS_9Iterators16numeric_iteratorIllPlEEZN8rajaperf9algorithm10REDUCE_SUM17runHipVariantRAJAILm256ENSM_13gpu_algorithm19block_atomic_helperENSM_11gpu_mapping20global_direct_helperEEEvNSM_9VariantIDEEUllE_lNS_4expt15ForallParamPackIJEEES6_SA_TnNSt9enable_ifIXaasr3std10is_base_ofINS5_10DirectBaseET4_EE5valuegtsrT5_10block_sizeLi0EEmE4typeELm256EEEvT1_T0_T2_T3_,"axG",@progbits,_ZN4RAJA6policy3hip4impl18forallp_hip_kernelINS1_8hip_execINS_17iteration_mapping6DirectENS_3hip11IndexGlobalILNS_9named_dimE0ELi256ELi0EEENS7_40AvoidDeviceMaxThreadOccupancyConcretizerINS7_34FractionOffsetOccupancyConcretizerINS_8FractionImLm1ELm1EEELln1EEEEELb1EEENS_9Iterators16numeric_iteratorIllPlEEZN8rajaperf9algorithm10REDUCE_SUM17runHipVariantRAJAILm256ENSM_13gpu_algorithm19block_atomic_helperENSM_11gpu_mapping20global_direct_helperEEEvNSM_9VariantIDEEUllE_lNS_4expt15ForallParamPackIJEEES6_SA_TnNSt9enable_ifIXaasr3std10is_base_ofINS5_10DirectBaseET4_EE5valuegtsrT5_10block_sizeLi0EEmE4typeELm256EEEvT1_T0_T2_T3_,comdat
.Lfunc_end11:
	.size	_ZN4RAJA6policy3hip4impl18forallp_hip_kernelINS1_8hip_execINS_17iteration_mapping6DirectENS_3hip11IndexGlobalILNS_9named_dimE0ELi256ELi0EEENS7_40AvoidDeviceMaxThreadOccupancyConcretizerINS7_34FractionOffsetOccupancyConcretizerINS_8FractionImLm1ELm1EEELln1EEEEELb1EEENS_9Iterators16numeric_iteratorIllPlEEZN8rajaperf9algorithm10REDUCE_SUM17runHipVariantRAJAILm256ENSM_13gpu_algorithm19block_atomic_helperENSM_11gpu_mapping20global_direct_helperEEEvNSM_9VariantIDEEUllE_lNS_4expt15ForallParamPackIJEEES6_SA_TnNSt9enable_ifIXaasr3std10is_base_ofINS5_10DirectBaseET4_EE5valuegtsrT5_10block_sizeLi0EEmE4typeELm256EEEvT1_T0_T2_T3_, .Lfunc_end11-_ZN4RAJA6policy3hip4impl18forallp_hip_kernelINS1_8hip_execINS_17iteration_mapping6DirectENS_3hip11IndexGlobalILNS_9named_dimE0ELi256ELi0EEENS7_40AvoidDeviceMaxThreadOccupancyConcretizerINS7_34FractionOffsetOccupancyConcretizerINS_8FractionImLm1ELm1EEELln1EEEEELb1EEENS_9Iterators16numeric_iteratorIllPlEEZN8rajaperf9algorithm10REDUCE_SUM17runHipVariantRAJAILm256ENSM_13gpu_algorithm19block_atomic_helperENSM_11gpu_mapping20global_direct_helperEEEvNSM_9VariantIDEEUllE_lNS_4expt15ForallParamPackIJEEES6_SA_TnNSt9enable_ifIXaasr3std10is_base_ofINS5_10DirectBaseET4_EE5valuegtsrT5_10block_sizeLi0EEmE4typeELm256EEEvT1_T0_T2_T3_
                                        ; -- End function
	.set _ZN4RAJA6policy3hip4impl18forallp_hip_kernelINS1_8hip_execINS_17iteration_mapping6DirectENS_3hip11IndexGlobalILNS_9named_dimE0ELi256ELi0EEENS7_40AvoidDeviceMaxThreadOccupancyConcretizerINS7_34FractionOffsetOccupancyConcretizerINS_8FractionImLm1ELm1EEELln1EEEEELb1EEENS_9Iterators16numeric_iteratorIllPlEEZN8rajaperf9algorithm10REDUCE_SUM17runHipVariantRAJAILm256ENSM_13gpu_algorithm19block_atomic_helperENSM_11gpu_mapping20global_direct_helperEEEvNSM_9VariantIDEEUllE_lNS_4expt15ForallParamPackIJEEES6_SA_TnNSt9enable_ifIXaasr3std10is_base_ofINS5_10DirectBaseET4_EE5valuegtsrT5_10block_sizeLi0EEmE4typeELm256EEEvT1_T0_T2_T3_.num_vgpr, 15
	.set _ZN4RAJA6policy3hip4impl18forallp_hip_kernelINS1_8hip_execINS_17iteration_mapping6DirectENS_3hip11IndexGlobalILNS_9named_dimE0ELi256ELi0EEENS7_40AvoidDeviceMaxThreadOccupancyConcretizerINS7_34FractionOffsetOccupancyConcretizerINS_8FractionImLm1ELm1EEELln1EEEEELb1EEENS_9Iterators16numeric_iteratorIllPlEEZN8rajaperf9algorithm10REDUCE_SUM17runHipVariantRAJAILm256ENSM_13gpu_algorithm19block_atomic_helperENSM_11gpu_mapping20global_direct_helperEEEvNSM_9VariantIDEEUllE_lNS_4expt15ForallParamPackIJEEES6_SA_TnNSt9enable_ifIXaasr3std10is_base_ofINS5_10DirectBaseET4_EE5valuegtsrT5_10block_sizeLi0EEmE4typeELm256EEEvT1_T0_T2_T3_.num_agpr, 0
	.set _ZN4RAJA6policy3hip4impl18forallp_hip_kernelINS1_8hip_execINS_17iteration_mapping6DirectENS_3hip11IndexGlobalILNS_9named_dimE0ELi256ELi0EEENS7_40AvoidDeviceMaxThreadOccupancyConcretizerINS7_34FractionOffsetOccupancyConcretizerINS_8FractionImLm1ELm1EEELln1EEEEELb1EEENS_9Iterators16numeric_iteratorIllPlEEZN8rajaperf9algorithm10REDUCE_SUM17runHipVariantRAJAILm256ENSM_13gpu_algorithm19block_atomic_helperENSM_11gpu_mapping20global_direct_helperEEEvNSM_9VariantIDEEUllE_lNS_4expt15ForallParamPackIJEEES6_SA_TnNSt9enable_ifIXaasr3std10is_base_ofINS5_10DirectBaseET4_EE5valuegtsrT5_10block_sizeLi0EEmE4typeELm256EEEvT1_T0_T2_T3_.numbered_sgpr, 20
	.set _ZN4RAJA6policy3hip4impl18forallp_hip_kernelINS1_8hip_execINS_17iteration_mapping6DirectENS_3hip11IndexGlobalILNS_9named_dimE0ELi256ELi0EEENS7_40AvoidDeviceMaxThreadOccupancyConcretizerINS7_34FractionOffsetOccupancyConcretizerINS_8FractionImLm1ELm1EEELln1EEEEELb1EEENS_9Iterators16numeric_iteratorIllPlEEZN8rajaperf9algorithm10REDUCE_SUM17runHipVariantRAJAILm256ENSM_13gpu_algorithm19block_atomic_helperENSM_11gpu_mapping20global_direct_helperEEEvNSM_9VariantIDEEUllE_lNS_4expt15ForallParamPackIJEEES6_SA_TnNSt9enable_ifIXaasr3std10is_base_ofINS5_10DirectBaseET4_EE5valuegtsrT5_10block_sizeLi0EEmE4typeELm256EEEvT1_T0_T2_T3_.num_named_barrier, 0
	.set _ZN4RAJA6policy3hip4impl18forallp_hip_kernelINS1_8hip_execINS_17iteration_mapping6DirectENS_3hip11IndexGlobalILNS_9named_dimE0ELi256ELi0EEENS7_40AvoidDeviceMaxThreadOccupancyConcretizerINS7_34FractionOffsetOccupancyConcretizerINS_8FractionImLm1ELm1EEELln1EEEEELb1EEENS_9Iterators16numeric_iteratorIllPlEEZN8rajaperf9algorithm10REDUCE_SUM17runHipVariantRAJAILm256ENSM_13gpu_algorithm19block_atomic_helperENSM_11gpu_mapping20global_direct_helperEEEvNSM_9VariantIDEEUllE_lNS_4expt15ForallParamPackIJEEES6_SA_TnNSt9enable_ifIXaasr3std10is_base_ofINS5_10DirectBaseET4_EE5valuegtsrT5_10block_sizeLi0EEmE4typeELm256EEEvT1_T0_T2_T3_.private_seg_size, 0
	.set _ZN4RAJA6policy3hip4impl18forallp_hip_kernelINS1_8hip_execINS_17iteration_mapping6DirectENS_3hip11IndexGlobalILNS_9named_dimE0ELi256ELi0EEENS7_40AvoidDeviceMaxThreadOccupancyConcretizerINS7_34FractionOffsetOccupancyConcretizerINS_8FractionImLm1ELm1EEELln1EEEEELb1EEENS_9Iterators16numeric_iteratorIllPlEEZN8rajaperf9algorithm10REDUCE_SUM17runHipVariantRAJAILm256ENSM_13gpu_algorithm19block_atomic_helperENSM_11gpu_mapping20global_direct_helperEEEvNSM_9VariantIDEEUllE_lNS_4expt15ForallParamPackIJEEES6_SA_TnNSt9enable_ifIXaasr3std10is_base_ofINS5_10DirectBaseET4_EE5valuegtsrT5_10block_sizeLi0EEmE4typeELm256EEEvT1_T0_T2_T3_.uses_vcc, 1
	.set _ZN4RAJA6policy3hip4impl18forallp_hip_kernelINS1_8hip_execINS_17iteration_mapping6DirectENS_3hip11IndexGlobalILNS_9named_dimE0ELi256ELi0EEENS7_40AvoidDeviceMaxThreadOccupancyConcretizerINS7_34FractionOffsetOccupancyConcretizerINS_8FractionImLm1ELm1EEELln1EEEEELb1EEENS_9Iterators16numeric_iteratorIllPlEEZN8rajaperf9algorithm10REDUCE_SUM17runHipVariantRAJAILm256ENSM_13gpu_algorithm19block_atomic_helperENSM_11gpu_mapping20global_direct_helperEEEvNSM_9VariantIDEEUllE_lNS_4expt15ForallParamPackIJEEES6_SA_TnNSt9enable_ifIXaasr3std10is_base_ofINS5_10DirectBaseET4_EE5valuegtsrT5_10block_sizeLi0EEmE4typeELm256EEEvT1_T0_T2_T3_.uses_flat_scratch, 0
	.set _ZN4RAJA6policy3hip4impl18forallp_hip_kernelINS1_8hip_execINS_17iteration_mapping6DirectENS_3hip11IndexGlobalILNS_9named_dimE0ELi256ELi0EEENS7_40AvoidDeviceMaxThreadOccupancyConcretizerINS7_34FractionOffsetOccupancyConcretizerINS_8FractionImLm1ELm1EEELln1EEEEELb1EEENS_9Iterators16numeric_iteratorIllPlEEZN8rajaperf9algorithm10REDUCE_SUM17runHipVariantRAJAILm256ENSM_13gpu_algorithm19block_atomic_helperENSM_11gpu_mapping20global_direct_helperEEEvNSM_9VariantIDEEUllE_lNS_4expt15ForallParamPackIJEEES6_SA_TnNSt9enable_ifIXaasr3std10is_base_ofINS5_10DirectBaseET4_EE5valuegtsrT5_10block_sizeLi0EEmE4typeELm256EEEvT1_T0_T2_T3_.has_dyn_sized_stack, 0
	.set _ZN4RAJA6policy3hip4impl18forallp_hip_kernelINS1_8hip_execINS_17iteration_mapping6DirectENS_3hip11IndexGlobalILNS_9named_dimE0ELi256ELi0EEENS7_40AvoidDeviceMaxThreadOccupancyConcretizerINS7_34FractionOffsetOccupancyConcretizerINS_8FractionImLm1ELm1EEELln1EEEEELb1EEENS_9Iterators16numeric_iteratorIllPlEEZN8rajaperf9algorithm10REDUCE_SUM17runHipVariantRAJAILm256ENSM_13gpu_algorithm19block_atomic_helperENSM_11gpu_mapping20global_direct_helperEEEvNSM_9VariantIDEEUllE_lNS_4expt15ForallParamPackIJEEES6_SA_TnNSt9enable_ifIXaasr3std10is_base_ofINS5_10DirectBaseET4_EE5valuegtsrT5_10block_sizeLi0EEmE4typeELm256EEEvT1_T0_T2_T3_.has_recursion, 0
	.set _ZN4RAJA6policy3hip4impl18forallp_hip_kernelINS1_8hip_execINS_17iteration_mapping6DirectENS_3hip11IndexGlobalILNS_9named_dimE0ELi256ELi0EEENS7_40AvoidDeviceMaxThreadOccupancyConcretizerINS7_34FractionOffsetOccupancyConcretizerINS_8FractionImLm1ELm1EEELln1EEEEELb1EEENS_9Iterators16numeric_iteratorIllPlEEZN8rajaperf9algorithm10REDUCE_SUM17runHipVariantRAJAILm256ENSM_13gpu_algorithm19block_atomic_helperENSM_11gpu_mapping20global_direct_helperEEEvNSM_9VariantIDEEUllE_lNS_4expt15ForallParamPackIJEEES6_SA_TnNSt9enable_ifIXaasr3std10is_base_ofINS5_10DirectBaseET4_EE5valuegtsrT5_10block_sizeLi0EEmE4typeELm256EEEvT1_T0_T2_T3_.has_indirect_call, 0
	.section	.AMDGPU.csdata,"",@progbits
; Kernel info:
; codeLenInByte = 1412
; TotalNumSgprs: 24
; NumVgprs: 15
; ScratchSize: 0
; MemoryBound: 0
; FloatMode: 240
; IeeeMode: 1
; LDSByteSize: 128 bytes/workgroup (compile time only)
; SGPRBlocks: 2
; VGPRBlocks: 3
; NumSGPRsForWavesPerEU: 24
; NumVGPRsForWavesPerEU: 15
; Occupancy: 10
; WaveLimiterHint : 0
; COMPUTE_PGM_RSRC2:SCRATCH_EN: 0
; COMPUTE_PGM_RSRC2:USER_SGPR: 6
; COMPUTE_PGM_RSRC2:TRAP_HANDLER: 0
; COMPUTE_PGM_RSRC2:TGID_X_EN: 1
; COMPUTE_PGM_RSRC2:TGID_Y_EN: 1
; COMPUTE_PGM_RSRC2:TGID_Z_EN: 1
; COMPUTE_PGM_RSRC2:TIDIG_COMP_CNT: 2
	.section	.text._ZN4RAJA6policy3hip4impl18forallp_hip_kernelINS1_8hip_execINS_17iteration_mapping6DirectENS_3hip11IndexGlobalILNS_9named_dimE0ELi256ELi0EEENS7_40AvoidDeviceMaxThreadOccupancyConcretizerINS7_34FractionOffsetOccupancyConcretizerINS_8FractionImLm1ELm1EEELln1EEEEELb1EEENS_9Iterators16numeric_iteratorIllPlEEZN8rajaperf9algorithm10REDUCE_SUM17runHipVariantRAJAILm256ENSM_13gpu_algorithm19block_device_helperENSM_11gpu_mapping20global_direct_helperEEEvNSM_9VariantIDEEUllE_lNS_4expt15ForallParamPackIJEEES6_SA_TnNSt9enable_ifIXaasr3std10is_base_ofINS5_10DirectBaseET4_EE5valuegtsrT5_10block_sizeLi0EEmE4typeELm256EEEvT1_T0_T2_T3_,"axG",@progbits,_ZN4RAJA6policy3hip4impl18forallp_hip_kernelINS1_8hip_execINS_17iteration_mapping6DirectENS_3hip11IndexGlobalILNS_9named_dimE0ELi256ELi0EEENS7_40AvoidDeviceMaxThreadOccupancyConcretizerINS7_34FractionOffsetOccupancyConcretizerINS_8FractionImLm1ELm1EEELln1EEEEELb1EEENS_9Iterators16numeric_iteratorIllPlEEZN8rajaperf9algorithm10REDUCE_SUM17runHipVariantRAJAILm256ENSM_13gpu_algorithm19block_device_helperENSM_11gpu_mapping20global_direct_helperEEEvNSM_9VariantIDEEUllE_lNS_4expt15ForallParamPackIJEEES6_SA_TnNSt9enable_ifIXaasr3std10is_base_ofINS5_10DirectBaseET4_EE5valuegtsrT5_10block_sizeLi0EEmE4typeELm256EEEvT1_T0_T2_T3_,comdat
	.protected	_ZN4RAJA6policy3hip4impl18forallp_hip_kernelINS1_8hip_execINS_17iteration_mapping6DirectENS_3hip11IndexGlobalILNS_9named_dimE0ELi256ELi0EEENS7_40AvoidDeviceMaxThreadOccupancyConcretizerINS7_34FractionOffsetOccupancyConcretizerINS_8FractionImLm1ELm1EEELln1EEEEELb1EEENS_9Iterators16numeric_iteratorIllPlEEZN8rajaperf9algorithm10REDUCE_SUM17runHipVariantRAJAILm256ENSM_13gpu_algorithm19block_device_helperENSM_11gpu_mapping20global_direct_helperEEEvNSM_9VariantIDEEUllE_lNS_4expt15ForallParamPackIJEEES6_SA_TnNSt9enable_ifIXaasr3std10is_base_ofINS5_10DirectBaseET4_EE5valuegtsrT5_10block_sizeLi0EEmE4typeELm256EEEvT1_T0_T2_T3_ ; -- Begin function _ZN4RAJA6policy3hip4impl18forallp_hip_kernelINS1_8hip_execINS_17iteration_mapping6DirectENS_3hip11IndexGlobalILNS_9named_dimE0ELi256ELi0EEENS7_40AvoidDeviceMaxThreadOccupancyConcretizerINS7_34FractionOffsetOccupancyConcretizerINS_8FractionImLm1ELm1EEELln1EEEEELb1EEENS_9Iterators16numeric_iteratorIllPlEEZN8rajaperf9algorithm10REDUCE_SUM17runHipVariantRAJAILm256ENSM_13gpu_algorithm19block_device_helperENSM_11gpu_mapping20global_direct_helperEEEvNSM_9VariantIDEEUllE_lNS_4expt15ForallParamPackIJEEES6_SA_TnNSt9enable_ifIXaasr3std10is_base_ofINS5_10DirectBaseET4_EE5valuegtsrT5_10block_sizeLi0EEmE4typeELm256EEEvT1_T0_T2_T3_
	.globl	_ZN4RAJA6policy3hip4impl18forallp_hip_kernelINS1_8hip_execINS_17iteration_mapping6DirectENS_3hip11IndexGlobalILNS_9named_dimE0ELi256ELi0EEENS7_40AvoidDeviceMaxThreadOccupancyConcretizerINS7_34FractionOffsetOccupancyConcretizerINS_8FractionImLm1ELm1EEELln1EEEEELb1EEENS_9Iterators16numeric_iteratorIllPlEEZN8rajaperf9algorithm10REDUCE_SUM17runHipVariantRAJAILm256ENSM_13gpu_algorithm19block_device_helperENSM_11gpu_mapping20global_direct_helperEEEvNSM_9VariantIDEEUllE_lNS_4expt15ForallParamPackIJEEES6_SA_TnNSt9enable_ifIXaasr3std10is_base_ofINS5_10DirectBaseET4_EE5valuegtsrT5_10block_sizeLi0EEmE4typeELm256EEEvT1_T0_T2_T3_
	.p2align	8
	.type	_ZN4RAJA6policy3hip4impl18forallp_hip_kernelINS1_8hip_execINS_17iteration_mapping6DirectENS_3hip11IndexGlobalILNS_9named_dimE0ELi256ELi0EEENS7_40AvoidDeviceMaxThreadOccupancyConcretizerINS7_34FractionOffsetOccupancyConcretizerINS_8FractionImLm1ELm1EEELln1EEEEELb1EEENS_9Iterators16numeric_iteratorIllPlEEZN8rajaperf9algorithm10REDUCE_SUM17runHipVariantRAJAILm256ENSM_13gpu_algorithm19block_device_helperENSM_11gpu_mapping20global_direct_helperEEEvNSM_9VariantIDEEUllE_lNS_4expt15ForallParamPackIJEEES6_SA_TnNSt9enable_ifIXaasr3std10is_base_ofINS5_10DirectBaseET4_EE5valuegtsrT5_10block_sizeLi0EEmE4typeELm256EEEvT1_T0_T2_T3_,@function
_ZN4RAJA6policy3hip4impl18forallp_hip_kernelINS1_8hip_execINS_17iteration_mapping6DirectENS_3hip11IndexGlobalILNS_9named_dimE0ELi256ELi0EEENS7_40AvoidDeviceMaxThreadOccupancyConcretizerINS7_34FractionOffsetOccupancyConcretizerINS_8FractionImLm1ELm1EEELln1EEEEELb1EEENS_9Iterators16numeric_iteratorIllPlEEZN8rajaperf9algorithm10REDUCE_SUM17runHipVariantRAJAILm256ENSM_13gpu_algorithm19block_device_helperENSM_11gpu_mapping20global_direct_helperEEEvNSM_9VariantIDEEUllE_lNS_4expt15ForallParamPackIJEEES6_SA_TnNSt9enable_ifIXaasr3std10is_base_ofINS5_10DirectBaseET4_EE5valuegtsrT5_10block_sizeLi0EEmE4typeELm256EEEvT1_T0_T2_T3_: ; @_ZN4RAJA6policy3hip4impl18forallp_hip_kernelINS1_8hip_execINS_17iteration_mapping6DirectENS_3hip11IndexGlobalILNS_9named_dimE0ELi256ELi0EEENS7_40AvoidDeviceMaxThreadOccupancyConcretizerINS7_34FractionOffsetOccupancyConcretizerINS_8FractionImLm1ELm1EEELln1EEEEELb1EEENS_9Iterators16numeric_iteratorIllPlEEZN8rajaperf9algorithm10REDUCE_SUM17runHipVariantRAJAILm256ENSM_13gpu_algorithm19block_device_helperENSM_11gpu_mapping20global_direct_helperEEEvNSM_9VariantIDEEUllE_lNS_4expt15ForallParamPackIJEEES6_SA_TnNSt9enable_ifIXaasr3std10is_base_ofINS5_10DirectBaseET4_EE5valuegtsrT5_10block_sizeLi0EEmE4typeELm256EEEvT1_T0_T2_T3_
; %bb.0:
	s_load_dwordx4 s[20:23], s[4:5], 0x40
	s_load_dwordx4 s[12:15], s[4:5], 0x0
	;; [unrolled: 1-line block ×3, first 2 shown]
	s_mov_b32 s0, s7
	s_mov_b32 s7, 0
	s_lshl_b64 s[2:3], s[6:7], 8
	v_or_b32_e32 v5, s2, v0
	v_mov_b32_e32 v6, s3
	s_waitcnt lgkmcnt(0)
	v_cmp_gt_i64_e32 vcc, s[22:23], v[5:6]
	v_mov_b32_e32 v3, s16
	v_mov_b32_e32 v4, s17
	s_and_saveexec_b64 s[2:3], vcc
	s_cbranch_execz .LBB12_2
; %bb.1:
	s_load_dwordx2 s[10:11], s[4:5], 0x38
	v_lshlrev_b64 v[3:4], 3, v[5:6]
	s_waitcnt lgkmcnt(0)
	v_mov_b32_e32 v5, s11
	v_add_co_u32_e32 v3, vcc, s10, v3
	v_addc_co_u32_e32 v4, vcc, v5, v4, vcc
	s_lshl_b64 s[10:11], s[20:21], 3
	v_mov_b32_e32 v5, s11
	v_add_co_u32_e32 v3, vcc, s10, v3
	v_addc_co_u32_e32 v4, vcc, v4, v5, vcc
	global_load_dwordx2 v[3:4], v[3:4], off
	s_waitcnt vmcnt(0)
	v_add_f64 v[3:4], s[16:17], v[3:4]
.LBB12_2:
	s_or_b64 exec, exec, s[2:3]
	s_cmp_lg_u64 s[12:13], 0
	s_cbranch_scc0 .LBB12_4
.LBB12_3:
	s_endpgm
.LBB12_4:
	s_load_dwordx2 s[20:21], s[4:5], 0x58
	s_add_u32 s1, s4, 0x58
	v_mov_b32_e32 v5, 0
	s_addc_u32 s3, s5, 0
	global_load_dword v6, v5, s[4:5] offset:102
	s_waitcnt lgkmcnt(0)
	s_cmp_lt_u32 s6, s20
	s_cselect_b32 s2, 12, 18
	s_add_u32 s2, s1, s2
	s_addc_u32 s3, s3, 0
	global_load_ushort v5, v5, s[2:3]
	v_mbcnt_lo_u32_b32 v7, -1, 0
	s_waitcnt vmcnt(1)
	v_readfirstlane_b32 s1, v6
	s_lshr_b32 s2, s1, 16
	s_and_b32 s1, s1, 0xffff
	s_waitcnt vmcnt(0)
	v_readfirstlane_b32 s3, v5
	s_mul_i32 s1, s1, s3
	v_mul_lo_u32 v2, s1, v2
	s_mul_i32 s2, s1, s2
	s_ashr_i32 s3, s2, 31
	s_and_b32 s1, s2, 63
	v_mul_u32_u24_e32 v1, v1, v5
	s_cmp_lg_u32 s1, 0
	s_cselect_b64 s[10:11], -1, 0
	s_cmp_eq_u32 s1, 0
	v_add3_u32 v11, v1, v0, v2
	v_mbcnt_hi_u32_b32 v2, -1, v7
	s_cbranch_scc1 .LBB12_40
; %bb.5:
	v_and_b32_e32 v7, 64, v2
	v_xor_b32_e32 v5, 1, v11
	v_and_or_b32 v0, v5, 63, v7
	v_lshlrev_b32_e32 v1, 2, v0
	ds_bpermute_b32 v0, v1, v3
	ds_bpermute_b32 v1, v1, v4
	v_xor_b32_e32 v8, 2, v11
	v_and_or_b32 v6, v8, 63, v7
	v_cmp_gt_i32_e32 vcc, s2, v5
	v_lshlrev_b32_e32 v6, 2, v6
	s_waitcnt lgkmcnt(0)
	v_add_f64 v[0:1], v[3:4], v[0:1]
	v_xor_b32_e32 v9, 4, v11
	v_and_or_b32 v10, v9, 63, v7
	v_lshlrev_b32_e32 v10, 2, v10
	v_cndmask_b32_e32 v1, v4, v1, vcc
	v_cndmask_b32_e32 v0, v3, v0, vcc
	ds_bpermute_b32 v5, v6, v0
	ds_bpermute_b32 v6, v6, v1
	v_cmp_gt_i32_e32 vcc, s2, v8
	v_xor_b32_e32 v8, 8, v11
	s_waitcnt lgkmcnt(0)
	v_add_f64 v[5:6], v[0:1], v[5:6]
	v_cndmask_b32_e32 v1, v1, v6, vcc
	v_cndmask_b32_e32 v0, v0, v5, vcc
	ds_bpermute_b32 v5, v10, v0
	ds_bpermute_b32 v6, v10, v1
	v_and_or_b32 v10, v8, 63, v7
	v_cmp_gt_i32_e32 vcc, s2, v9
	v_lshlrev_b32_e32 v10, 2, v10
	v_xor_b32_e32 v9, 16, v11
	s_waitcnt lgkmcnt(0)
	v_add_f64 v[5:6], v[0:1], v[5:6]
	v_cndmask_b32_e32 v1, v1, v6, vcc
	v_cndmask_b32_e32 v0, v0, v5, vcc
	ds_bpermute_b32 v5, v10, v0
	ds_bpermute_b32 v6, v10, v1
	v_and_or_b32 v10, v9, 63, v7
	v_cmp_gt_i32_e32 vcc, s2, v8
	v_lshlrev_b32_e32 v10, 2, v10
	v_xor_b32_e32 v8, 32, v11
	s_waitcnt lgkmcnt(0)
	v_add_f64 v[5:6], v[0:1], v[5:6]
	v_and_or_b32 v7, v8, 63, v7
	v_lshlrev_b32_e32 v7, 2, v7
	v_cndmask_b32_e32 v1, v1, v6, vcc
	v_cndmask_b32_e32 v0, v0, v5, vcc
	ds_bpermute_b32 v5, v10, v0
	ds_bpermute_b32 v6, v10, v1
	v_cmp_gt_i32_e32 vcc, s2, v9
	s_waitcnt lgkmcnt(0)
	v_add_f64 v[5:6], v[0:1], v[5:6]
	v_cndmask_b32_e32 v1, v1, v6, vcc
	v_cndmask_b32_e32 v0, v0, v5, vcc
	ds_bpermute_b32 v5, v7, v0
	ds_bpermute_b32 v6, v7, v1
	v_cmp_gt_i32_e32 vcc, s2, v8
	s_waitcnt lgkmcnt(0)
	v_add_f64 v[5:6], v[0:1], v[5:6]
	v_cndmask_b32_e32 v1, v1, v6, vcc
	v_cndmask_b32_e32 v0, v0, v5, vcc
	s_load_dwordx2 s[22:23], s[4:5], 0x28
	s_cbranch_execnz .LBB12_7
.LBB12_6:
	v_and_b32_e32 v0, 64, v2
	v_add_u32_e32 v7, 64, v0
	v_xor_b32_e32 v0, 1, v2
	v_cmp_lt_i32_e32 vcc, v0, v7
	v_cndmask_b32_e32 v0, v2, v0, vcc
	v_lshlrev_b32_e32 v1, 2, v0
	ds_bpermute_b32 v0, v1, v3
	ds_bpermute_b32 v1, v1, v4
	v_xor_b32_e32 v5, 2, v2
	v_cmp_lt_i32_e32 vcc, v5, v7
	v_cndmask_b32_e32 v5, v2, v5, vcc
	v_lshlrev_b32_e32 v6, 2, v5
	s_waitcnt lgkmcnt(0)
	v_add_f64 v[0:1], v[3:4], v[0:1]
	ds_bpermute_b32 v5, v6, v0
	ds_bpermute_b32 v6, v6, v1
	s_waitcnt lgkmcnt(0)
	v_add_f64 v[0:1], v[0:1], v[5:6]
	v_xor_b32_e32 v5, 4, v2
	v_cmp_lt_i32_e32 vcc, v5, v7
	v_cndmask_b32_e32 v5, v2, v5, vcc
	v_lshlrev_b32_e32 v6, 2, v5
	ds_bpermute_b32 v5, v6, v0
	ds_bpermute_b32 v6, v6, v1
	s_waitcnt lgkmcnt(0)
	v_add_f64 v[0:1], v[0:1], v[5:6]
	v_xor_b32_e32 v5, 8, v2
	v_cmp_lt_i32_e32 vcc, v5, v7
	v_cndmask_b32_e32 v5, v2, v5, vcc
	v_lshlrev_b32_e32 v6, 2, v5
	;; [unrolled: 8-line block ×4, first 2 shown]
	ds_bpermute_b32 v5, v6, v0
	ds_bpermute_b32 v6, v6, v1
	s_waitcnt lgkmcnt(0)
	v_add_f64 v[0:1], v[0:1], v[5:6]
.LBB12_7:
	v_ashrrev_i32_e32 v12, 31, v11
	s_load_dword s1, s[4:5], 0x60
	v_lshrrev_b32_e32 v5, 26, v12
	v_add_u32_e32 v5, v11, v5
	v_ashrrev_i32_e32 v13, 6, v5
	v_and_b32_e32 v5, 0xffffffc0, v5
	v_sub_u32_e32 v5, v11, v5
	s_cmp_gt_i32 s2, 64
	s_cselect_b64 s[12:13], -1, 0
	s_cmpk_lt_i32 s2, 0x41
	v_ashrrev_i32_e32 v6, 31, v5
	s_cbranch_scc1 .LBB12_15
; %bb.8:
	v_cmp_eq_u32_e32 vcc, 0, v5
	s_and_saveexec_b64 s[4:5], vcc
; %bb.9:
	v_lshlrev_b32_e32 v7, 3, v13
	ds_write_b64 v7, v[0:1]
; %bb.10:
	s_or_b64 exec, exec, s[4:5]
	v_add_co_u32_e32 v7, vcc, 63, v11
	v_addc_co_u32_e32 v8, vcc, 0, v12, vcc
	s_mov_b64 s[4:5], 0x7f
	v_cmp_gt_u64_e32 vcc, s[4:5], v[7:8]
	s_waitcnt lgkmcnt(0)
	s_barrier
	s_and_saveexec_b64 s[4:5], vcc
	s_cbranch_execz .LBB12_14
; %bb.11:
	v_lshlrev_b64 v[0:1], 6, v[5:6]
	v_cmp_gt_i64_e32 vcc, s[2:3], v[0:1]
	v_mov_b32_e32 v0, s16
	v_mov_b32_e32 v1, s17
	s_and_saveexec_b64 s[24:25], vcc
; %bb.12:
	v_lshlrev_b32_e32 v0, 3, v5
	ds_read_b64 v[0:1], v0
; %bb.13:
	s_or_b64 exec, exec, s[24:25]
	v_and_b32_e32 v7, 64, v2
	v_add_u32_e32 v9, 64, v7
	v_xor_b32_e32 v7, 1, v2
	v_cmp_lt_i32_e32 vcc, v7, v9
	v_cndmask_b32_e32 v7, v2, v7, vcc
	v_lshlrev_b32_e32 v8, 2, v7
	s_waitcnt lgkmcnt(0)
	ds_bpermute_b32 v7, v8, v0
	ds_bpermute_b32 v8, v8, v1
	s_waitcnt lgkmcnt(0)
	v_add_f64 v[0:1], v[0:1], v[7:8]
	v_xor_b32_e32 v7, 2, v2
	v_cmp_lt_i32_e32 vcc, v7, v9
	v_cndmask_b32_e32 v7, v2, v7, vcc
	v_lshlrev_b32_e32 v8, 2, v7
	ds_bpermute_b32 v7, v8, v0
	ds_bpermute_b32 v8, v8, v1
	s_waitcnt lgkmcnt(0)
	v_add_f64 v[0:1], v[0:1], v[7:8]
	v_xor_b32_e32 v7, 4, v2
	v_cmp_lt_i32_e32 vcc, v7, v9
	v_cndmask_b32_e32 v7, v2, v7, vcc
	v_lshlrev_b32_e32 v8, 2, v7
	ds_bpermute_b32 v7, v8, v0
	ds_bpermute_b32 v8, v8, v1
	s_waitcnt lgkmcnt(0)
	v_add_f64 v[0:1], v[0:1], v[7:8]
	v_xor_b32_e32 v7, 8, v2
	v_cmp_lt_i32_e32 vcc, v7, v9
	v_cndmask_b32_e32 v7, v2, v7, vcc
	v_lshlrev_b32_e32 v8, 2, v7
	ds_bpermute_b32 v7, v8, v0
	ds_bpermute_b32 v8, v8, v1
	s_waitcnt lgkmcnt(0)
	v_add_f64 v[0:1], v[0:1], v[7:8]
.LBB12_14:
	s_or_b64 exec, exec, s[4:5]
	s_barrier
.LBB12_15:
	s_mul_i32 s0, s20, s0
	s_mul_i32 s4, s21, s20
	s_add_i32 s0, s0, s6
	s_mul_i32 s5, s4, s8
	s_add_i32 s0, s0, s5
	s_waitcnt lgkmcnt(0)
	s_mul_i32 s6, s1, s4
	s_ashr_i32 s1, s0, 31
	s_lshr_b32 s1, s1, 27
	s_add_i32 s8, s0, s1
	s_and_b32 s1, s8, 0xffffffe0
	s_sub_i32 s4, s0, s1
	s_ashr_i32 s0, s6, 31
	s_lshr_b32 s0, s0, 27
	s_add_i32 s0, s6, s0
	s_ashr_i32 s5, s0, 5
	s_andn2_b32 s0, s0, 31
	s_sub_i32 s0, s6, s0
	s_cmp_lt_i32 s4, s0
	s_cselect_b64 s[0:1], -1, 0
	s_cmp_lg_u64 s[0:1], 0
	s_addc_u32 s5, s5, 0
	s_cmp_gt_u32 s5, 1
	v_cmp_eq_u32_e64 s[0:1], 0, v11
	s_cbranch_scc0 .LBB12_36
; %bb.16:
	s_add_i32 s6, s6, 31
	s_ashr_i32 s7, s6, 31
	s_lshr_b32 s7, s7, 27
	s_add_i32 s6, s6, s7
	s_ashr_i32 s20, s6, 5
	s_mul_i32 s20, s20, s4
	s_and_saveexec_b64 s[6:7], s[0:1]
	s_cbranch_execz .LBB12_18
; %bb.17:
	s_ashr_i32 s9, s8, 5
	s_add_i32 s24, s20, s9
	s_ashr_i32 s25, s24, 31
	s_lshl_b32 s8, s4, 3
	s_lshl_b64 s[24:25], s[24:25], 3
	s_add_u32 s24, s22, s24
	s_addc_u32 s25, s23, s25
	s_ashr_i32 s9, s8, 31
	s_lshl_b64 s[8:9], s[8:9], 2
	v_mov_b32_e32 v7, s24
	s_add_u32 s8, s18, s8
	v_mov_b32_e32 v8, s25
	s_addc_u32 s9, s19, s9
	s_add_i32 s18, s5, -1
	flat_store_dwordx2 v[7:8], v[0:1]
	v_mov_b32_e32 v7, 0
	v_mov_b32_e32 v8, s18
	s_waitcnt vmcnt(0) lgkmcnt(0)
	global_atomic_inc v8, v7, v8, s[8:9] glc
	s_waitcnt vmcnt(0)
	v_cmp_eq_u32_e32 vcc, s18, v8
	v_cndmask_b32_e64 v8, 0, 1, vcc
	ds_write_b8 v7, v8 offset:128
.LBB12_18:
	s_or_b64 exec, exec, s[6:7]
	v_mov_b32_e32 v7, 0
	s_waitcnt lgkmcnt(0)
	s_barrier
	ds_read_u8 v7, v7 offset:128
	s_mov_b64 s[6:7], 0
	s_waitcnt lgkmcnt(0)
	v_and_b32_e32 v7, 1, v7
	v_cmp_eq_u32_e32 vcc, 0, v7
	v_mov_b32_e32 v8, v4
	v_mov_b32_e32 v7, v3
	s_cbranch_vccnz .LBB12_35
; %bb.19:
	v_mov_b32_e32 v7, s16
	v_cmp_gt_u32_e32 vcc, s5, v11
	v_mov_b32_e32 v8, s17
	s_and_saveexec_b64 s[6:7], vcc
	s_cbranch_execz .LBB12_23
; %bb.20:
	v_mov_b32_e32 v7, s16
	s_mov_b64 s[8:9], 0
	v_mov_b32_e32 v8, s17
	v_mov_b32_e32 v10, 0
	;; [unrolled: 1-line block ×4, first 2 shown]
.LBB12_21:                              ; =>This Inner Loop Header: Depth=1
	v_add_u32_e32 v9, s20, v15
	v_lshlrev_b64 v[16:17], 3, v[9:10]
	v_add_u32_e32 v15, s2, v15
	v_add_co_u32_e32 v16, vcc, s22, v16
	v_addc_co_u32_e32 v17, vcc, v14, v17, vcc
	flat_load_dwordx2 v[16:17], v[16:17] glc
	v_cmp_le_u32_e32 vcc, s5, v15
	s_or_b64 s[8:9], vcc, s[8:9]
	s_waitcnt vmcnt(0) lgkmcnt(0)
	v_add_f64 v[7:8], v[7:8], v[16:17]
	s_andn2_b64 exec, exec, s[8:9]
	s_cbranch_execnz .LBB12_21
; %bb.22:
	s_or_b64 exec, exec, s[8:9]
.LBB12_23:
	s_or_b64 exec, exec, s[6:7]
	s_andn2_b64 vcc, exec, s[10:11]
	s_cbranch_vccnz .LBB12_41
; %bb.24:
	v_and_b32_e32 v16, 64, v2
	v_xor_b32_e32 v14, 1, v11
	v_and_or_b32 v9, v14, 63, v16
	v_lshlrev_b32_e32 v10, 2, v9
	ds_bpermute_b32 v9, v10, v7
	ds_bpermute_b32 v10, v10, v8
	v_xor_b32_e32 v17, 2, v11
	v_and_or_b32 v15, v17, 63, v16
	v_cmp_gt_i32_e32 vcc, s2, v14
	v_lshlrev_b32_e32 v15, 2, v15
	s_waitcnt lgkmcnt(0)
	v_add_f64 v[9:10], v[7:8], v[9:10]
	v_xor_b32_e32 v18, 4, v11
	v_and_or_b32 v19, v18, 63, v16
	v_lshlrev_b32_e32 v19, 2, v19
	v_cndmask_b32_e32 v10, v8, v10, vcc
	v_cndmask_b32_e32 v9, v7, v9, vcc
	ds_bpermute_b32 v14, v15, v9
	ds_bpermute_b32 v15, v15, v10
	v_cmp_gt_i32_e32 vcc, s2, v17
	v_xor_b32_e32 v17, 8, v11
	s_waitcnt lgkmcnt(0)
	v_add_f64 v[14:15], v[9:10], v[14:15]
	v_cndmask_b32_e32 v10, v10, v15, vcc
	v_cndmask_b32_e32 v9, v9, v14, vcc
	ds_bpermute_b32 v14, v19, v9
	ds_bpermute_b32 v15, v19, v10
	v_and_or_b32 v19, v17, 63, v16
	v_cmp_gt_i32_e32 vcc, s2, v18
	v_lshlrev_b32_e32 v19, 2, v19
	v_xor_b32_e32 v18, 16, v11
	s_waitcnt lgkmcnt(0)
	v_add_f64 v[14:15], v[9:10], v[14:15]
	v_cndmask_b32_e32 v10, v10, v15, vcc
	v_cndmask_b32_e32 v9, v9, v14, vcc
	ds_bpermute_b32 v14, v19, v9
	ds_bpermute_b32 v15, v19, v10
	v_and_or_b32 v19, v18, 63, v16
	v_cmp_gt_i32_e32 vcc, s2, v17
	v_lshlrev_b32_e32 v19, 2, v19
	v_xor_b32_e32 v17, 32, v11
	s_waitcnt lgkmcnt(0)
	v_add_f64 v[14:15], v[9:10], v[14:15]
	v_and_or_b32 v16, v17, 63, v16
	v_lshlrev_b32_e32 v16, 2, v16
	v_cndmask_b32_e32 v10, v10, v15, vcc
	v_cndmask_b32_e32 v9, v9, v14, vcc
	ds_bpermute_b32 v14, v19, v9
	ds_bpermute_b32 v15, v19, v10
	v_cmp_gt_i32_e32 vcc, s2, v18
	s_waitcnt lgkmcnt(0)
	v_add_f64 v[14:15], v[9:10], v[14:15]
	v_cndmask_b32_e32 v10, v10, v15, vcc
	v_cndmask_b32_e32 v9, v9, v14, vcc
	ds_bpermute_b32 v14, v16, v9
	ds_bpermute_b32 v15, v16, v10
	v_cmp_gt_i32_e32 vcc, s2, v17
	s_waitcnt lgkmcnt(0)
	v_add_f64 v[14:15], v[9:10], v[14:15]
	v_cndmask_b32_e32 v10, v10, v15, vcc
	v_cndmask_b32_e32 v9, v9, v14, vcc
	s_cbranch_execnz .LBB12_26
.LBB12_25:
	v_and_b32_e32 v9, 64, v2
	v_add_u32_e32 v14, 64, v9
	v_xor_b32_e32 v9, 1, v2
	v_cmp_lt_i32_e32 vcc, v9, v14
	v_cndmask_b32_e32 v9, v2, v9, vcc
	v_lshlrev_b32_e32 v10, 2, v9
	ds_bpermute_b32 v9, v10, v7
	ds_bpermute_b32 v10, v10, v8
	s_waitcnt lgkmcnt(0)
	v_add_f64 v[7:8], v[7:8], v[9:10]
	v_xor_b32_e32 v9, 2, v2
	v_cmp_lt_i32_e32 vcc, v9, v14
	v_cndmask_b32_e32 v9, v2, v9, vcc
	v_lshlrev_b32_e32 v10, 2, v9
	ds_bpermute_b32 v9, v10, v7
	ds_bpermute_b32 v10, v10, v8
	s_waitcnt lgkmcnt(0)
	v_add_f64 v[7:8], v[7:8], v[9:10]
	;; [unrolled: 8-line block ×6, first 2 shown]
.LBB12_26:
	s_andn2_b64 vcc, exec, s[12:13]
	s_cbranch_vccnz .LBB12_34
; %bb.27:
	v_cmp_eq_u32_e32 vcc, 0, v5
	s_and_saveexec_b64 s[6:7], vcc
; %bb.28:
	v_lshlrev_b32_e32 v7, 3, v13
	ds_write_b64 v7, v[9:10]
; %bb.29:
	s_or_b64 exec, exec, s[6:7]
	v_add_co_u32_e32 v7, vcc, 63, v11
	v_addc_co_u32_e32 v8, vcc, 0, v12, vcc
	s_mov_b64 s[6:7], 0x7f
	v_cmp_gt_u64_e32 vcc, s[6:7], v[7:8]
	s_waitcnt lgkmcnt(0)
	s_barrier
	s_and_saveexec_b64 s[6:7], vcc
	s_cbranch_execz .LBB12_33
; %bb.30:
	v_lshlrev_b64 v[6:7], 6, v[5:6]
	v_cmp_gt_i64_e32 vcc, s[2:3], v[6:7]
	v_mov_b32_e32 v6, s16
	v_mov_b32_e32 v7, s17
	s_and_saveexec_b64 s[2:3], vcc
; %bb.31:
	v_lshlrev_b32_e32 v5, 3, v5
	ds_read_b64 v[6:7], v5
; %bb.32:
	s_or_b64 exec, exec, s[2:3]
	v_and_b32_e32 v5, 64, v2
	v_add_u32_e32 v10, 64, v5
	v_xor_b32_e32 v5, 1, v2
	v_cmp_lt_i32_e32 vcc, v5, v10
	v_cndmask_b32_e32 v5, v2, v5, vcc
	v_lshlrev_b32_e32 v5, 2, v5
	s_waitcnt lgkmcnt(0)
	ds_bpermute_b32 v8, v5, v6
	ds_bpermute_b32 v9, v5, v7
	s_waitcnt lgkmcnt(0)
	v_add_f64 v[5:6], v[6:7], v[8:9]
	v_xor_b32_e32 v7, 2, v2
	v_cmp_lt_i32_e32 vcc, v7, v10
	v_cndmask_b32_e32 v7, v2, v7, vcc
	v_lshlrev_b32_e32 v8, 2, v7
	ds_bpermute_b32 v7, v8, v5
	ds_bpermute_b32 v8, v8, v6
	s_waitcnt lgkmcnt(0)
	v_add_f64 v[5:6], v[5:6], v[7:8]
	v_xor_b32_e32 v7, 4, v2
	v_cmp_lt_i32_e32 vcc, v7, v10
	v_cndmask_b32_e32 v7, v2, v7, vcc
	v_lshlrev_b32_e32 v8, 2, v7
	;; [unrolled: 8-line block ×3, first 2 shown]
	ds_bpermute_b32 v7, v2, v5
	ds_bpermute_b32 v8, v2, v6
	s_waitcnt lgkmcnt(0)
	v_add_f64 v[9:10], v[5:6], v[7:8]
.LBB12_33:
	s_or_b64 exec, exec, s[6:7]
	s_barrier
.LBB12_34:
	v_mov_b32_e32 v2, 0
	ds_read_u8 v2, v2 offset:128
	v_cndmask_b32_e64 v8, v4, v10, s[0:1]
	v_cndmask_b32_e64 v7, v3, v9, s[0:1]
	s_waitcnt lgkmcnt(0)
	v_and_b32_e32 v2, 1, v2
	v_cmp_eq_u32_e64 s[6:7], 1, v2
.LBB12_35:
	s_and_b64 s[2:3], s[0:1], s[6:7]
	s_branch .LBB12_38
.LBB12_36:
                                        ; implicit-def: $sgpr2_sgpr3
                                        ; implicit-def: $vgpr7_vgpr8
	s_cbranch_execz .LBB12_38
; %bb.37:
	v_cndmask_b32_e64 v8, v4, v1, s[0:1]
	v_cndmask_b32_e64 v7, v3, v0, s[0:1]
	s_andn2_b64 s[2:3], s[2:3], exec
	s_and_b64 s[0:1], s[0:1], exec
	s_or_b64 s[2:3], s[2:3], s[0:1]
.LBB12_38:
	s_and_saveexec_b64 s[0:1], s[2:3]
	s_cbranch_execz .LBB12_3
; %bb.39:
	s_ashr_i32 s5, s4, 31
	s_lshl_b64 s[0:1], s[4:5], 3
	s_add_u32 s0, s14, s0
	s_addc_u32 s1, s15, s1
	v_mov_b32_e32 v0, s0
	v_mov_b32_e32 v1, s1
	flat_store_dwordx2 v[0:1], v[7:8]
	s_endpgm
.LBB12_40:
                                        ; implicit-def: $vgpr0_vgpr1
	s_load_dwordx2 s[22:23], s[4:5], 0x28
	s_branch .LBB12_6
.LBB12_41:
                                        ; implicit-def: $vgpr9_vgpr10
	s_branch .LBB12_25
	.section	.rodata,"a",@progbits
	.p2align	6, 0x0
	.amdhsa_kernel _ZN4RAJA6policy3hip4impl18forallp_hip_kernelINS1_8hip_execINS_17iteration_mapping6DirectENS_3hip11IndexGlobalILNS_9named_dimE0ELi256ELi0EEENS7_40AvoidDeviceMaxThreadOccupancyConcretizerINS7_34FractionOffsetOccupancyConcretizerINS_8FractionImLm1ELm1EEELln1EEEEELb1EEENS_9Iterators16numeric_iteratorIllPlEEZN8rajaperf9algorithm10REDUCE_SUM17runHipVariantRAJAILm256ENSM_13gpu_algorithm19block_device_helperENSM_11gpu_mapping20global_direct_helperEEEvNSM_9VariantIDEEUllE_lNS_4expt15ForallParamPackIJEEES6_SA_TnNSt9enable_ifIXaasr3std10is_base_ofINS5_10DirectBaseET4_EE5valuegtsrT5_10block_sizeLi0EEmE4typeELm256EEEvT1_T0_T2_T3_
		.amdhsa_group_segment_fixed_size 129
		.amdhsa_private_segment_fixed_size 0
		.amdhsa_kernarg_size 344
		.amdhsa_user_sgpr_count 6
		.amdhsa_user_sgpr_private_segment_buffer 1
		.amdhsa_user_sgpr_dispatch_ptr 0
		.amdhsa_user_sgpr_queue_ptr 0
		.amdhsa_user_sgpr_kernarg_segment_ptr 1
		.amdhsa_user_sgpr_dispatch_id 0
		.amdhsa_user_sgpr_flat_scratch_init 0
		.amdhsa_user_sgpr_private_segment_size 0
		.amdhsa_uses_dynamic_stack 0
		.amdhsa_system_sgpr_private_segment_wavefront_offset 0
		.amdhsa_system_sgpr_workgroup_id_x 1
		.amdhsa_system_sgpr_workgroup_id_y 1
		.amdhsa_system_sgpr_workgroup_id_z 1
		.amdhsa_system_sgpr_workgroup_info 0
		.amdhsa_system_vgpr_workitem_id 2
		.amdhsa_next_free_vgpr 20
		.amdhsa_next_free_sgpr 26
		.amdhsa_reserve_vcc 1
		.amdhsa_reserve_flat_scratch 0
		.amdhsa_float_round_mode_32 0
		.amdhsa_float_round_mode_16_64 0
		.amdhsa_float_denorm_mode_32 3
		.amdhsa_float_denorm_mode_16_64 3
		.amdhsa_dx10_clamp 1
		.amdhsa_ieee_mode 1
		.amdhsa_fp16_overflow 0
		.amdhsa_exception_fp_ieee_invalid_op 0
		.amdhsa_exception_fp_denorm_src 0
		.amdhsa_exception_fp_ieee_div_zero 0
		.amdhsa_exception_fp_ieee_overflow 0
		.amdhsa_exception_fp_ieee_underflow 0
		.amdhsa_exception_fp_ieee_inexact 0
		.amdhsa_exception_int_div_zero 0
	.end_amdhsa_kernel
	.section	.text._ZN4RAJA6policy3hip4impl18forallp_hip_kernelINS1_8hip_execINS_17iteration_mapping6DirectENS_3hip11IndexGlobalILNS_9named_dimE0ELi256ELi0EEENS7_40AvoidDeviceMaxThreadOccupancyConcretizerINS7_34FractionOffsetOccupancyConcretizerINS_8FractionImLm1ELm1EEELln1EEEEELb1EEENS_9Iterators16numeric_iteratorIllPlEEZN8rajaperf9algorithm10REDUCE_SUM17runHipVariantRAJAILm256ENSM_13gpu_algorithm19block_device_helperENSM_11gpu_mapping20global_direct_helperEEEvNSM_9VariantIDEEUllE_lNS_4expt15ForallParamPackIJEEES6_SA_TnNSt9enable_ifIXaasr3std10is_base_ofINS5_10DirectBaseET4_EE5valuegtsrT5_10block_sizeLi0EEmE4typeELm256EEEvT1_T0_T2_T3_,"axG",@progbits,_ZN4RAJA6policy3hip4impl18forallp_hip_kernelINS1_8hip_execINS_17iteration_mapping6DirectENS_3hip11IndexGlobalILNS_9named_dimE0ELi256ELi0EEENS7_40AvoidDeviceMaxThreadOccupancyConcretizerINS7_34FractionOffsetOccupancyConcretizerINS_8FractionImLm1ELm1EEELln1EEEEELb1EEENS_9Iterators16numeric_iteratorIllPlEEZN8rajaperf9algorithm10REDUCE_SUM17runHipVariantRAJAILm256ENSM_13gpu_algorithm19block_device_helperENSM_11gpu_mapping20global_direct_helperEEEvNSM_9VariantIDEEUllE_lNS_4expt15ForallParamPackIJEEES6_SA_TnNSt9enable_ifIXaasr3std10is_base_ofINS5_10DirectBaseET4_EE5valuegtsrT5_10block_sizeLi0EEmE4typeELm256EEEvT1_T0_T2_T3_,comdat
.Lfunc_end12:
	.size	_ZN4RAJA6policy3hip4impl18forallp_hip_kernelINS1_8hip_execINS_17iteration_mapping6DirectENS_3hip11IndexGlobalILNS_9named_dimE0ELi256ELi0EEENS7_40AvoidDeviceMaxThreadOccupancyConcretizerINS7_34FractionOffsetOccupancyConcretizerINS_8FractionImLm1ELm1EEELln1EEEEELb1EEENS_9Iterators16numeric_iteratorIllPlEEZN8rajaperf9algorithm10REDUCE_SUM17runHipVariantRAJAILm256ENSM_13gpu_algorithm19block_device_helperENSM_11gpu_mapping20global_direct_helperEEEvNSM_9VariantIDEEUllE_lNS_4expt15ForallParamPackIJEEES6_SA_TnNSt9enable_ifIXaasr3std10is_base_ofINS5_10DirectBaseET4_EE5valuegtsrT5_10block_sizeLi0EEmE4typeELm256EEEvT1_T0_T2_T3_, .Lfunc_end12-_ZN4RAJA6policy3hip4impl18forallp_hip_kernelINS1_8hip_execINS_17iteration_mapping6DirectENS_3hip11IndexGlobalILNS_9named_dimE0ELi256ELi0EEENS7_40AvoidDeviceMaxThreadOccupancyConcretizerINS7_34FractionOffsetOccupancyConcretizerINS_8FractionImLm1ELm1EEELln1EEEEELb1EEENS_9Iterators16numeric_iteratorIllPlEEZN8rajaperf9algorithm10REDUCE_SUM17runHipVariantRAJAILm256ENSM_13gpu_algorithm19block_device_helperENSM_11gpu_mapping20global_direct_helperEEEvNSM_9VariantIDEEUllE_lNS_4expt15ForallParamPackIJEEES6_SA_TnNSt9enable_ifIXaasr3std10is_base_ofINS5_10DirectBaseET4_EE5valuegtsrT5_10block_sizeLi0EEmE4typeELm256EEEvT1_T0_T2_T3_
                                        ; -- End function
	.set _ZN4RAJA6policy3hip4impl18forallp_hip_kernelINS1_8hip_execINS_17iteration_mapping6DirectENS_3hip11IndexGlobalILNS_9named_dimE0ELi256ELi0EEENS7_40AvoidDeviceMaxThreadOccupancyConcretizerINS7_34FractionOffsetOccupancyConcretizerINS_8FractionImLm1ELm1EEELln1EEEEELb1EEENS_9Iterators16numeric_iteratorIllPlEEZN8rajaperf9algorithm10REDUCE_SUM17runHipVariantRAJAILm256ENSM_13gpu_algorithm19block_device_helperENSM_11gpu_mapping20global_direct_helperEEEvNSM_9VariantIDEEUllE_lNS_4expt15ForallParamPackIJEEES6_SA_TnNSt9enable_ifIXaasr3std10is_base_ofINS5_10DirectBaseET4_EE5valuegtsrT5_10block_sizeLi0EEmE4typeELm256EEEvT1_T0_T2_T3_.num_vgpr, 20
	.set _ZN4RAJA6policy3hip4impl18forallp_hip_kernelINS1_8hip_execINS_17iteration_mapping6DirectENS_3hip11IndexGlobalILNS_9named_dimE0ELi256ELi0EEENS7_40AvoidDeviceMaxThreadOccupancyConcretizerINS7_34FractionOffsetOccupancyConcretizerINS_8FractionImLm1ELm1EEELln1EEEEELb1EEENS_9Iterators16numeric_iteratorIllPlEEZN8rajaperf9algorithm10REDUCE_SUM17runHipVariantRAJAILm256ENSM_13gpu_algorithm19block_device_helperENSM_11gpu_mapping20global_direct_helperEEEvNSM_9VariantIDEEUllE_lNS_4expt15ForallParamPackIJEEES6_SA_TnNSt9enable_ifIXaasr3std10is_base_ofINS5_10DirectBaseET4_EE5valuegtsrT5_10block_sizeLi0EEmE4typeELm256EEEvT1_T0_T2_T3_.num_agpr, 0
	.set _ZN4RAJA6policy3hip4impl18forallp_hip_kernelINS1_8hip_execINS_17iteration_mapping6DirectENS_3hip11IndexGlobalILNS_9named_dimE0ELi256ELi0EEENS7_40AvoidDeviceMaxThreadOccupancyConcretizerINS7_34FractionOffsetOccupancyConcretizerINS_8FractionImLm1ELm1EEELln1EEEEELb1EEENS_9Iterators16numeric_iteratorIllPlEEZN8rajaperf9algorithm10REDUCE_SUM17runHipVariantRAJAILm256ENSM_13gpu_algorithm19block_device_helperENSM_11gpu_mapping20global_direct_helperEEEvNSM_9VariantIDEEUllE_lNS_4expt15ForallParamPackIJEEES6_SA_TnNSt9enable_ifIXaasr3std10is_base_ofINS5_10DirectBaseET4_EE5valuegtsrT5_10block_sizeLi0EEmE4typeELm256EEEvT1_T0_T2_T3_.numbered_sgpr, 26
	.set _ZN4RAJA6policy3hip4impl18forallp_hip_kernelINS1_8hip_execINS_17iteration_mapping6DirectENS_3hip11IndexGlobalILNS_9named_dimE0ELi256ELi0EEENS7_40AvoidDeviceMaxThreadOccupancyConcretizerINS7_34FractionOffsetOccupancyConcretizerINS_8FractionImLm1ELm1EEELln1EEEEELb1EEENS_9Iterators16numeric_iteratorIllPlEEZN8rajaperf9algorithm10REDUCE_SUM17runHipVariantRAJAILm256ENSM_13gpu_algorithm19block_device_helperENSM_11gpu_mapping20global_direct_helperEEEvNSM_9VariantIDEEUllE_lNS_4expt15ForallParamPackIJEEES6_SA_TnNSt9enable_ifIXaasr3std10is_base_ofINS5_10DirectBaseET4_EE5valuegtsrT5_10block_sizeLi0EEmE4typeELm256EEEvT1_T0_T2_T3_.num_named_barrier, 0
	.set _ZN4RAJA6policy3hip4impl18forallp_hip_kernelINS1_8hip_execINS_17iteration_mapping6DirectENS_3hip11IndexGlobalILNS_9named_dimE0ELi256ELi0EEENS7_40AvoidDeviceMaxThreadOccupancyConcretizerINS7_34FractionOffsetOccupancyConcretizerINS_8FractionImLm1ELm1EEELln1EEEEELb1EEENS_9Iterators16numeric_iteratorIllPlEEZN8rajaperf9algorithm10REDUCE_SUM17runHipVariantRAJAILm256ENSM_13gpu_algorithm19block_device_helperENSM_11gpu_mapping20global_direct_helperEEEvNSM_9VariantIDEEUllE_lNS_4expt15ForallParamPackIJEEES6_SA_TnNSt9enable_ifIXaasr3std10is_base_ofINS5_10DirectBaseET4_EE5valuegtsrT5_10block_sizeLi0EEmE4typeELm256EEEvT1_T0_T2_T3_.private_seg_size, 0
	.set _ZN4RAJA6policy3hip4impl18forallp_hip_kernelINS1_8hip_execINS_17iteration_mapping6DirectENS_3hip11IndexGlobalILNS_9named_dimE0ELi256ELi0EEENS7_40AvoidDeviceMaxThreadOccupancyConcretizerINS7_34FractionOffsetOccupancyConcretizerINS_8FractionImLm1ELm1EEELln1EEEEELb1EEENS_9Iterators16numeric_iteratorIllPlEEZN8rajaperf9algorithm10REDUCE_SUM17runHipVariantRAJAILm256ENSM_13gpu_algorithm19block_device_helperENSM_11gpu_mapping20global_direct_helperEEEvNSM_9VariantIDEEUllE_lNS_4expt15ForallParamPackIJEEES6_SA_TnNSt9enable_ifIXaasr3std10is_base_ofINS5_10DirectBaseET4_EE5valuegtsrT5_10block_sizeLi0EEmE4typeELm256EEEvT1_T0_T2_T3_.uses_vcc, 1
	.set _ZN4RAJA6policy3hip4impl18forallp_hip_kernelINS1_8hip_execINS_17iteration_mapping6DirectENS_3hip11IndexGlobalILNS_9named_dimE0ELi256ELi0EEENS7_40AvoidDeviceMaxThreadOccupancyConcretizerINS7_34FractionOffsetOccupancyConcretizerINS_8FractionImLm1ELm1EEELln1EEEEELb1EEENS_9Iterators16numeric_iteratorIllPlEEZN8rajaperf9algorithm10REDUCE_SUM17runHipVariantRAJAILm256ENSM_13gpu_algorithm19block_device_helperENSM_11gpu_mapping20global_direct_helperEEEvNSM_9VariantIDEEUllE_lNS_4expt15ForallParamPackIJEEES6_SA_TnNSt9enable_ifIXaasr3std10is_base_ofINS5_10DirectBaseET4_EE5valuegtsrT5_10block_sizeLi0EEmE4typeELm256EEEvT1_T0_T2_T3_.uses_flat_scratch, 0
	.set _ZN4RAJA6policy3hip4impl18forallp_hip_kernelINS1_8hip_execINS_17iteration_mapping6DirectENS_3hip11IndexGlobalILNS_9named_dimE0ELi256ELi0EEENS7_40AvoidDeviceMaxThreadOccupancyConcretizerINS7_34FractionOffsetOccupancyConcretizerINS_8FractionImLm1ELm1EEELln1EEEEELb1EEENS_9Iterators16numeric_iteratorIllPlEEZN8rajaperf9algorithm10REDUCE_SUM17runHipVariantRAJAILm256ENSM_13gpu_algorithm19block_device_helperENSM_11gpu_mapping20global_direct_helperEEEvNSM_9VariantIDEEUllE_lNS_4expt15ForallParamPackIJEEES6_SA_TnNSt9enable_ifIXaasr3std10is_base_ofINS5_10DirectBaseET4_EE5valuegtsrT5_10block_sizeLi0EEmE4typeELm256EEEvT1_T0_T2_T3_.has_dyn_sized_stack, 0
	.set _ZN4RAJA6policy3hip4impl18forallp_hip_kernelINS1_8hip_execINS_17iteration_mapping6DirectENS_3hip11IndexGlobalILNS_9named_dimE0ELi256ELi0EEENS7_40AvoidDeviceMaxThreadOccupancyConcretizerINS7_34FractionOffsetOccupancyConcretizerINS_8FractionImLm1ELm1EEELln1EEEEELb1EEENS_9Iterators16numeric_iteratorIllPlEEZN8rajaperf9algorithm10REDUCE_SUM17runHipVariantRAJAILm256ENSM_13gpu_algorithm19block_device_helperENSM_11gpu_mapping20global_direct_helperEEEvNSM_9VariantIDEEUllE_lNS_4expt15ForallParamPackIJEEES6_SA_TnNSt9enable_ifIXaasr3std10is_base_ofINS5_10DirectBaseET4_EE5valuegtsrT5_10block_sizeLi0EEmE4typeELm256EEEvT1_T0_T2_T3_.has_recursion, 0
	.set _ZN4RAJA6policy3hip4impl18forallp_hip_kernelINS1_8hip_execINS_17iteration_mapping6DirectENS_3hip11IndexGlobalILNS_9named_dimE0ELi256ELi0EEENS7_40AvoidDeviceMaxThreadOccupancyConcretizerINS7_34FractionOffsetOccupancyConcretizerINS_8FractionImLm1ELm1EEELln1EEEEELb1EEENS_9Iterators16numeric_iteratorIllPlEEZN8rajaperf9algorithm10REDUCE_SUM17runHipVariantRAJAILm256ENSM_13gpu_algorithm19block_device_helperENSM_11gpu_mapping20global_direct_helperEEEvNSM_9VariantIDEEUllE_lNS_4expt15ForallParamPackIJEEES6_SA_TnNSt9enable_ifIXaasr3std10is_base_ofINS5_10DirectBaseET4_EE5valuegtsrT5_10block_sizeLi0EEmE4typeELm256EEEvT1_T0_T2_T3_.has_indirect_call, 0
	.section	.AMDGPU.csdata,"",@progbits
; Kernel info:
; codeLenInByte = 2768
; TotalNumSgprs: 30
; NumVgprs: 20
; ScratchSize: 0
; MemoryBound: 0
; FloatMode: 240
; IeeeMode: 1
; LDSByteSize: 129 bytes/workgroup (compile time only)
; SGPRBlocks: 3
; VGPRBlocks: 4
; NumSGPRsForWavesPerEU: 30
; NumVGPRsForWavesPerEU: 20
; Occupancy: 10
; WaveLimiterHint : 0
; COMPUTE_PGM_RSRC2:SCRATCH_EN: 0
; COMPUTE_PGM_RSRC2:USER_SGPR: 6
; COMPUTE_PGM_RSRC2:TRAP_HANDLER: 0
; COMPUTE_PGM_RSRC2:TGID_X_EN: 1
; COMPUTE_PGM_RSRC2:TGID_Y_EN: 1
; COMPUTE_PGM_RSRC2:TGID_Z_EN: 1
; COMPUTE_PGM_RSRC2:TIDIG_COMP_CNT: 2
	.section	.text._ZN4RAJA6policy3hip4impl18forallp_hip_kernelINS1_8hip_execINS_17iteration_mapping6DirectENS_3hip11IndexGlobalILNS_9named_dimE0ELi256ELi0EEENS7_40AvoidDeviceMaxThreadOccupancyConcretizerINS7_34FractionOffsetOccupancyConcretizerINS_8FractionImLm1ELm1EEELln1EEEEELb1EEENS_9Iterators16numeric_iteratorIllPlEEZN8rajaperf9algorithm10REDUCE_SUM26runHipVariantRAJANewReduceILm256ENSM_11gpu_mapping20global_direct_helperEEEvNSM_9VariantIDEEUllRNS_4expt5ValOpIdNS_9operators4plusEEEE_lNST_15ForallParamPackIJNST_6detail7ReducerINSW_IdddEEdSX_EEEEES6_SA_TnNSt9enable_ifIXaasr3std10is_base_ofINS5_10DirectBaseET4_EE5valuegtsrT5_10block_sizeLi0EEmE4typeELm256EEEvT1_T0_T2_T3_,"axG",@progbits,_ZN4RAJA6policy3hip4impl18forallp_hip_kernelINS1_8hip_execINS_17iteration_mapping6DirectENS_3hip11IndexGlobalILNS_9named_dimE0ELi256ELi0EEENS7_40AvoidDeviceMaxThreadOccupancyConcretizerINS7_34FractionOffsetOccupancyConcretizerINS_8FractionImLm1ELm1EEELln1EEEEELb1EEENS_9Iterators16numeric_iteratorIllPlEEZN8rajaperf9algorithm10REDUCE_SUM26runHipVariantRAJANewReduceILm256ENSM_11gpu_mapping20global_direct_helperEEEvNSM_9VariantIDEEUllRNS_4expt5ValOpIdNS_9operators4plusEEEE_lNST_15ForallParamPackIJNST_6detail7ReducerINSW_IdddEEdSX_EEEEES6_SA_TnNSt9enable_ifIXaasr3std10is_base_ofINS5_10DirectBaseET4_EE5valuegtsrT5_10block_sizeLi0EEmE4typeELm256EEEvT1_T0_T2_T3_,comdat
	.protected	_ZN4RAJA6policy3hip4impl18forallp_hip_kernelINS1_8hip_execINS_17iteration_mapping6DirectENS_3hip11IndexGlobalILNS_9named_dimE0ELi256ELi0EEENS7_40AvoidDeviceMaxThreadOccupancyConcretizerINS7_34FractionOffsetOccupancyConcretizerINS_8FractionImLm1ELm1EEELln1EEEEELb1EEENS_9Iterators16numeric_iteratorIllPlEEZN8rajaperf9algorithm10REDUCE_SUM26runHipVariantRAJANewReduceILm256ENSM_11gpu_mapping20global_direct_helperEEEvNSM_9VariantIDEEUllRNS_4expt5ValOpIdNS_9operators4plusEEEE_lNST_15ForallParamPackIJNST_6detail7ReducerINSW_IdddEEdSX_EEEEES6_SA_TnNSt9enable_ifIXaasr3std10is_base_ofINS5_10DirectBaseET4_EE5valuegtsrT5_10block_sizeLi0EEmE4typeELm256EEEvT1_T0_T2_T3_ ; -- Begin function _ZN4RAJA6policy3hip4impl18forallp_hip_kernelINS1_8hip_execINS_17iteration_mapping6DirectENS_3hip11IndexGlobalILNS_9named_dimE0ELi256ELi0EEENS7_40AvoidDeviceMaxThreadOccupancyConcretizerINS7_34FractionOffsetOccupancyConcretizerINS_8FractionImLm1ELm1EEELln1EEEEELb1EEENS_9Iterators16numeric_iteratorIllPlEEZN8rajaperf9algorithm10REDUCE_SUM26runHipVariantRAJANewReduceILm256ENSM_11gpu_mapping20global_direct_helperEEEvNSM_9VariantIDEEUllRNS_4expt5ValOpIdNS_9operators4plusEEEE_lNST_15ForallParamPackIJNST_6detail7ReducerINSW_IdddEEdSX_EEEEES6_SA_TnNSt9enable_ifIXaasr3std10is_base_ofINS5_10DirectBaseET4_EE5valuegtsrT5_10block_sizeLi0EEmE4typeELm256EEEvT1_T0_T2_T3_
	.globl	_ZN4RAJA6policy3hip4impl18forallp_hip_kernelINS1_8hip_execINS_17iteration_mapping6DirectENS_3hip11IndexGlobalILNS_9named_dimE0ELi256ELi0EEENS7_40AvoidDeviceMaxThreadOccupancyConcretizerINS7_34FractionOffsetOccupancyConcretizerINS_8FractionImLm1ELm1EEELln1EEEEELb1EEENS_9Iterators16numeric_iteratorIllPlEEZN8rajaperf9algorithm10REDUCE_SUM26runHipVariantRAJANewReduceILm256ENSM_11gpu_mapping20global_direct_helperEEEvNSM_9VariantIDEEUllRNS_4expt5ValOpIdNS_9operators4plusEEEE_lNST_15ForallParamPackIJNST_6detail7ReducerINSW_IdddEEdSX_EEEEES6_SA_TnNSt9enable_ifIXaasr3std10is_base_ofINS5_10DirectBaseET4_EE5valuegtsrT5_10block_sizeLi0EEmE4typeELm256EEEvT1_T0_T2_T3_
	.p2align	8
	.type	_ZN4RAJA6policy3hip4impl18forallp_hip_kernelINS1_8hip_execINS_17iteration_mapping6DirectENS_3hip11IndexGlobalILNS_9named_dimE0ELi256ELi0EEENS7_40AvoidDeviceMaxThreadOccupancyConcretizerINS7_34FractionOffsetOccupancyConcretizerINS_8FractionImLm1ELm1EEELln1EEEEELb1EEENS_9Iterators16numeric_iteratorIllPlEEZN8rajaperf9algorithm10REDUCE_SUM26runHipVariantRAJANewReduceILm256ENSM_11gpu_mapping20global_direct_helperEEEvNSM_9VariantIDEEUllRNS_4expt5ValOpIdNS_9operators4plusEEEE_lNST_15ForallParamPackIJNST_6detail7ReducerINSW_IdddEEdSX_EEEEES6_SA_TnNSt9enable_ifIXaasr3std10is_base_ofINS5_10DirectBaseET4_EE5valuegtsrT5_10block_sizeLi0EEmE4typeELm256EEEvT1_T0_T2_T3_,@function
_ZN4RAJA6policy3hip4impl18forallp_hip_kernelINS1_8hip_execINS_17iteration_mapping6DirectENS_3hip11IndexGlobalILNS_9named_dimE0ELi256ELi0EEENS7_40AvoidDeviceMaxThreadOccupancyConcretizerINS7_34FractionOffsetOccupancyConcretizerINS_8FractionImLm1ELm1EEELln1EEEEELb1EEENS_9Iterators16numeric_iteratorIllPlEEZN8rajaperf9algorithm10REDUCE_SUM26runHipVariantRAJANewReduceILm256ENSM_11gpu_mapping20global_direct_helperEEEvNSM_9VariantIDEEUllRNS_4expt5ValOpIdNS_9operators4plusEEEE_lNST_15ForallParamPackIJNST_6detail7ReducerINSW_IdddEEdSX_EEEEES6_SA_TnNSt9enable_ifIXaasr3std10is_base_ofINS5_10DirectBaseET4_EE5valuegtsrT5_10block_sizeLi0EEmE4typeELm256EEEvT1_T0_T2_T3_: ; @_ZN4RAJA6policy3hip4impl18forallp_hip_kernelINS1_8hip_execINS_17iteration_mapping6DirectENS_3hip11IndexGlobalILNS_9named_dimE0ELi256ELi0EEENS7_40AvoidDeviceMaxThreadOccupancyConcretizerINS7_34FractionOffsetOccupancyConcretizerINS_8FractionImLm1ELm1EEELln1EEEEELb1EEENS_9Iterators16numeric_iteratorIllPlEEZN8rajaperf9algorithm10REDUCE_SUM26runHipVariantRAJANewReduceILm256ENSM_11gpu_mapping20global_direct_helperEEEvNSM_9VariantIDEEUllRNS_4expt5ValOpIdNS_9operators4plusEEEE_lNST_15ForallParamPackIJNST_6detail7ReducerINSW_IdddEEdSX_EEEEES6_SA_TnNSt9enable_ifIXaasr3std10is_base_ofINS5_10DirectBaseET4_EE5valuegtsrT5_10block_sizeLi0EEmE4typeELm256EEEvT1_T0_T2_T3_
; %bb.0:
	s_load_dwordx8 s[8:15], s[4:5], 0x0
	s_mov_b32 s7, 0
	s_lshl_b64 s[0:1], s[6:7], 8
	v_or_b32_e32 v5, s0, v0
	v_mov_b32_e32 v6, s1
	s_waitcnt lgkmcnt(0)
	v_cmp_gt_i64_e32 vcc, s[12:13], v[5:6]
	v_mov_b32_e32 v3, s14
	v_mov_b32_e32 v4, s15
	s_and_saveexec_b64 s[0:1], vcc
	s_cbranch_execz .LBB13_2
; %bb.1:
	v_lshlrev_b64 v[3:4], 3, v[5:6]
	v_mov_b32_e32 v5, s9
	v_add_co_u32_e32 v3, vcc, s8, v3
	v_addc_co_u32_e32 v4, vcc, v5, v4, vcc
	s_lshl_b64 s[2:3], s[10:11], 3
	v_mov_b32_e32 v5, s3
	v_add_co_u32_e32 v3, vcc, s2, v3
	v_addc_co_u32_e32 v4, vcc, v4, v5, vcc
	global_load_dwordx2 v[3:4], v[3:4], off
	s_waitcnt vmcnt(0)
	v_add_f64 v[3:4], s[14:15], v[3:4]
.LBB13_2:
	s_or_b64 exec, exec, s[0:1]
	v_mbcnt_lo_u32_b32 v5, -1, 0
	v_mbcnt_hi_u32_b32 v12, -1, v5
	v_and_b32_e32 v5, 64, v12
	v_add_u32_e32 v11, 64, v5
	v_xor_b32_e32 v5, 1, v12
	v_cmp_lt_i32_e32 vcc, v5, v11
	v_cndmask_b32_e32 v5, v12, v5, vcc
	v_lshlrev_b32_e32 v5, 2, v5
	ds_bpermute_b32 v6, v5, v3
	ds_bpermute_b32 v7, v5, v4
	s_load_dwordx4 s[8:11], s[4:5], 0x28
	s_load_dwordx2 s[14:15], s[4:5], 0x38
	s_add_u32 s12, s4, 64
	s_addc_u32 s13, s5, 0
	s_waitcnt lgkmcnt(0)
	v_add_f64 v[3:4], v[3:4], v[6:7]
	v_xor_b32_e32 v6, 2, v12
	v_cmp_lt_i32_e32 vcc, v6, v11
	v_cndmask_b32_e32 v6, v12, v6, vcc
	v_lshlrev_b32_e32 v6, 2, v6
	ds_bpermute_b32 v7, v6, v3
	ds_bpermute_b32 v8, v6, v4
	s_waitcnt lgkmcnt(0)
	v_add_f64 v[3:4], v[3:4], v[7:8]
	v_xor_b32_e32 v7, 4, v12
	v_cmp_lt_i32_e32 vcc, v7, v11
	v_cndmask_b32_e32 v7, v12, v7, vcc
	v_lshlrev_b32_e32 v7, 2, v7
	ds_bpermute_b32 v8, v7, v3
	ds_bpermute_b32 v9, v7, v4
	;; [unrolled: 8-line block ×3, first 2 shown]
	s_waitcnt lgkmcnt(0)
	v_add_f64 v[3:4], v[3:4], v[9:10]
	v_xor_b32_e32 v9, 16, v12
	v_cmp_lt_i32_e32 vcc, v9, v11
	v_cndmask_b32_e32 v9, v12, v9, vcc
	v_lshlrev_b32_e32 v10, 2, v9
	v_xor_b32_e32 v9, 32, v12
	v_cmp_lt_i32_e32 vcc, v9, v11
	v_cndmask_b32_e32 v9, v12, v9, vcc
	ds_bpermute_b32 v13, v10, v3
	ds_bpermute_b32 v14, v10, v4
	v_lshlrev_b32_e32 v11, 2, v9
	v_and_b32_e32 v9, 63, v0
	v_cmp_eq_u32_e64 s[0:1], 0, v9
	s_waitcnt lgkmcnt(0)
	v_add_f64 v[3:4], v[3:4], v[13:14]
	ds_bpermute_b32 v13, v11, v3
	ds_bpermute_b32 v14, v11, v4
	s_waitcnt lgkmcnt(0)
	v_add_f64 v[3:4], v[3:4], v[13:14]
	s_and_saveexec_b64 s[2:3], s[0:1]
; %bb.3:
	v_lshrrev_b32_e32 v13, 3, v0
	ds_write_b64 v13, v[3:4] offset:256
; %bb.4:
	s_or_b64 exec, exec, s[2:3]
	s_load_dword s18, s[4:5], 0x40
	v_cmp_gt_u32_e64 s[2:3], 64, v0
	s_waitcnt lgkmcnt(0)
	s_barrier
	s_and_saveexec_b64 s[4:5], s[2:3]
	s_cbranch_execz .LBB13_8
; %bb.5:
	v_mov_b32_e32 v3, 0
	v_mov_b32_e32 v4, 0
	v_cmp_gt_u32_e32 vcc, 4, v9
	s_and_saveexec_b64 s[16:17], vcc
; %bb.6:
	v_lshlrev_b32_e32 v3, 3, v9
	ds_read_b64 v[3:4], v3 offset:256
; %bb.7:
	s_or_b64 exec, exec, s[16:17]
	s_waitcnt lgkmcnt(0)
	ds_bpermute_b32 v13, v5, v3
	ds_bpermute_b32 v14, v5, v4
	s_waitcnt lgkmcnt(0)
	v_add_f64 v[3:4], v[3:4], v[13:14]
	ds_bpermute_b32 v13, v6, v3
	ds_bpermute_b32 v14, v6, v4
	s_waitcnt lgkmcnt(0)
	v_add_f64 v[3:4], v[3:4], v[13:14]
	;; [unrolled: 4-line block ×4, first 2 shown]
.LBB13_8:
	s_or_b64 exec, exec, s[4:5]
	v_mov_b32_e32 v13, 0
	v_cmp_eq_u32_e64 s[4:5], 0, v0
	v_mov_b32_e32 v14, 0
	s_barrier
	s_and_saveexec_b64 s[16:17], s[4:5]
	s_cbranch_execz .LBB13_10
; %bb.9:
	s_ashr_i32 s7, s6, 31
	s_add_i32 s19, s18, -1
	s_lshl_b64 s[20:21], s[6:7], 3
	s_add_u32 s20, s10, s20
	v_mov_b32_e32 v14, 0
	s_addc_u32 s21, s11, s21
	global_store_dwordx2 v14, v[3:4], s[20:21]
	v_mov_b32_e32 v3, s19
	s_waitcnt vmcnt(0)
	buffer_wbinvl1_vol
	global_atomic_inc v3, v14, v3, s[14:15] glc
	s_waitcnt vmcnt(0)
	v_cmp_eq_u32_e32 vcc, s19, v3
	v_cndmask_b32_e64 v14, 0, 1, vcc
.LBB13_10:
	s_or_b64 exec, exec, s[16:17]
	global_load_dword v3, v13, s[12:13] offset:14
	v_or_b32_dpp v4, v14, v14 row_shl:1 row_mask:0xf bank_mask:0xf bound_ctrl:1
	s_waitcnt vmcnt(0)
	v_readfirstlane_b32 s7, v3
	s_lshr_b32 s14, s7, 16
	s_and_b32 s7, s7, 0xffff
	s_cmp_lt_u32 s6, s18
	s_cselect_b32 s6, 12, 18
	s_add_u32 s12, s12, s6
	s_addc_u32 s13, s13, 0
	global_load_ushort v3, v13, s[12:13]
	v_or_b32_dpp v4, v4, v4 row_shl:2 row_mask:0xf bank_mask:0xf bound_ctrl:1
	s_waitcnt vmcnt(0)
	v_readfirstlane_b32 s13, v3
	v_or_b32_dpp v4, v4, v4 row_shl:4 row_mask:0xf bank_mask:0xf bound_ctrl:1
	s_mul_i32 s13, s7, s13
	s_bfe_i32 s13, s13, 0x180000
	v_or_b32_dpp v4, v4, v4 row_shl:8 row_mask:0xf bank_mask:0xf bound_ctrl:1
	s_mul_i32 s13, s13, s14
	s_add_i32 s13, s13, 63
	v_mov_b32_dpp v13, v4 wave_shl:1 row_mask:0xf bank_mask:0xf bound_ctrl:1
	s_bitcmp1_b32 exec_hi, 0
	s_nop 0
	v_or_b32_dpp v4, v13, v4 row_mirror row_mask:0xf bank_mask:0xf bound_ctrl:1
	v_readlane_b32 s6, v4, 32
	v_readlane_b32 s12, v4, 0
	s_cselect_b32 s6, s6, 0
	s_or_b32 s12, s6, s12
	s_andn2_b32 s13, s13, 63
	s_cmp_eq_u32 s13, 64
	v_mov_b32_e32 v4, s12
	s_cbranch_scc1 .LBB13_17
; %bb.11:
	v_mad_u32_u24 v1, v2, s7, v1
	v_mad_u64_u32 v[1:2], s[6:7], v1, v3, v[0:1]
	v_lshrrev_b32_e32 v2, 6, v1
	v_or_b32_e32 v2, v2, v12
	v_cmp_eq_u32_e32 vcc, 0, v2
	s_and_saveexec_b64 s[6:7], vcc
; %bb.12:
	v_mov_b32_e32 v2, 0
	v_mov_b32_e32 v3, s12
	ds_write_b32 v2, v3
; %bb.13:
	s_or_b64 exec, exec, s[6:7]
	v_cmp_eq_u32_e32 vcc, 0, v12
	v_cmp_lt_u32_e64 s[6:7], 63, v1
	s_and_b64 s[14:15], vcc, s[6:7]
	s_waitcnt lgkmcnt(0)
	s_barrier
	s_and_saveexec_b64 s[6:7], s[14:15]
	s_cbranch_execz .LBB13_16
; %bb.14:
	v_mbcnt_lo_u32_b32 v1, exec_lo, 0
	v_mbcnt_hi_u32_b32 v1, exec_hi, v1
	v_cmp_eq_u32_e32 vcc, 0, v1
	s_and_b64 exec, exec, vcc
; %bb.15:
	v_mov_b32_e32 v1, 0
	v_mov_b32_e32 v2, s12
	ds_or_b32 v1, v2
.LBB13_16:
	s_or_b64 exec, exec, s[6:7]
	v_mov_b32_e32 v1, 0
	s_waitcnt lgkmcnt(0)
	s_barrier
	ds_read_b32 v4, v1
	s_waitcnt lgkmcnt(0)
	s_barrier
.LBB13_17:
	v_cmp_eq_u32_e32 vcc, 0, v4
	s_cbranch_vccnz .LBB13_30
; %bb.18:
	v_mov_b32_e32 v1, 0
	v_mov_b32_e32 v2, 0
	v_cmp_gt_i32_e32 vcc, s18, v0
	buffer_wbinvl1_vol
	s_and_saveexec_b64 s[12:13], vcc
	s_cbranch_execz .LBB13_22
; %bb.19:
	v_lshlrev_b32_e32 v1, 3, v0
	v_mov_b32_e32 v2, s11
	v_add_co_u32_e32 v3, vcc, s10, v1
	v_addc_co_u32_e32 v4, vcc, 0, v2, vcc
	v_mov_b32_e32 v1, 0
	v_mov_b32_e32 v2, 0
	s_mov_b64 s[10:11], 0
	v_mov_b32_e32 v12, v0
.LBB13_20:                              ; =>This Inner Loop Header: Depth=1
	global_load_dwordx2 v[13:14], v[3:4], off
	v_add_u32_e32 v12, 0x100, v12
	v_add_co_u32_e32 v3, vcc, 0x800, v3
	v_cmp_le_i32_e64 s[6:7], s18, v12
	s_or_b64 s[10:11], s[6:7], s[10:11]
	v_addc_co_u32_e32 v4, vcc, 0, v4, vcc
	s_waitcnt vmcnt(0)
	v_add_f64 v[1:2], v[1:2], v[13:14]
	s_andn2_b64 exec, exec, s[10:11]
	s_cbranch_execnz .LBB13_20
; %bb.21:
	s_or_b64 exec, exec, s[10:11]
.LBB13_22:
	s_or_b64 exec, exec, s[12:13]
	ds_bpermute_b32 v3, v5, v1
	ds_bpermute_b32 v4, v5, v2
	s_waitcnt lgkmcnt(0)
	v_add_f64 v[1:2], v[1:2], v[3:4]
	ds_bpermute_b32 v3, v6, v1
	ds_bpermute_b32 v4, v6, v2
	s_waitcnt lgkmcnt(0)
	v_add_f64 v[1:2], v[1:2], v[3:4]
	;; [unrolled: 4-line block ×6, first 2 shown]
	s_and_saveexec_b64 s[6:7], s[0:1]
; %bb.23:
	v_lshrrev_b32_e32 v0, 3, v0
	ds_write_b64 v0, v[1:2] offset:256
; %bb.24:
	s_or_b64 exec, exec, s[6:7]
	s_waitcnt lgkmcnt(0)
	s_barrier
	s_and_saveexec_b64 s[0:1], s[2:3]
	s_cbranch_execz .LBB13_28
; %bb.25:
	v_mov_b32_e32 v0, 0
	v_mov_b32_e32 v1, 0
	v_cmp_gt_u32_e32 vcc, 4, v9
	s_and_saveexec_b64 s[2:3], vcc
; %bb.26:
	v_lshlrev_b32_e32 v0, 3, v9
	ds_read_b64 v[0:1], v0 offset:256
; %bb.27:
	s_or_b64 exec, exec, s[2:3]
	s_waitcnt lgkmcnt(0)
	ds_bpermute_b32 v2, v5, v0
	ds_bpermute_b32 v3, v5, v1
	s_waitcnt lgkmcnt(0)
	v_add_f64 v[0:1], v[0:1], v[2:3]
	ds_bpermute_b32 v2, v6, v0
	ds_bpermute_b32 v3, v6, v1
	s_waitcnt lgkmcnt(0)
	v_add_f64 v[0:1], v[0:1], v[2:3]
	;; [unrolled: 4-line block ×4, first 2 shown]
.LBB13_28:
	s_or_b64 exec, exec, s[0:1]
	s_barrier
	s_and_saveexec_b64 s[0:1], s[4:5]
	s_cbranch_execz .LBB13_30
; %bb.29:
	v_mov_b32_e32 v0, 0
	global_store_dwordx2 v0, v[1:2], s[8:9]
.LBB13_30:
	s_endpgm
	.section	.rodata,"a",@progbits
	.p2align	6, 0x0
	.amdhsa_kernel _ZN4RAJA6policy3hip4impl18forallp_hip_kernelINS1_8hip_execINS_17iteration_mapping6DirectENS_3hip11IndexGlobalILNS_9named_dimE0ELi256ELi0EEENS7_40AvoidDeviceMaxThreadOccupancyConcretizerINS7_34FractionOffsetOccupancyConcretizerINS_8FractionImLm1ELm1EEELln1EEEEELb1EEENS_9Iterators16numeric_iteratorIllPlEEZN8rajaperf9algorithm10REDUCE_SUM26runHipVariantRAJANewReduceILm256ENSM_11gpu_mapping20global_direct_helperEEEvNSM_9VariantIDEEUllRNS_4expt5ValOpIdNS_9operators4plusEEEE_lNST_15ForallParamPackIJNST_6detail7ReducerINSW_IdddEEdSX_EEEEES6_SA_TnNSt9enable_ifIXaasr3std10is_base_ofINS5_10DirectBaseET4_EE5valuegtsrT5_10block_sizeLi0EEmE4typeELm256EEEvT1_T0_T2_T3_
		.amdhsa_group_segment_fixed_size 384
		.amdhsa_private_segment_fixed_size 0
		.amdhsa_kernarg_size 320
		.amdhsa_user_sgpr_count 6
		.amdhsa_user_sgpr_private_segment_buffer 1
		.amdhsa_user_sgpr_dispatch_ptr 0
		.amdhsa_user_sgpr_queue_ptr 0
		.amdhsa_user_sgpr_kernarg_segment_ptr 1
		.amdhsa_user_sgpr_dispatch_id 0
		.amdhsa_user_sgpr_flat_scratch_init 0
		.amdhsa_user_sgpr_private_segment_size 0
		.amdhsa_uses_dynamic_stack 0
		.amdhsa_system_sgpr_private_segment_wavefront_offset 0
		.amdhsa_system_sgpr_workgroup_id_x 1
		.amdhsa_system_sgpr_workgroup_id_y 0
		.amdhsa_system_sgpr_workgroup_id_z 0
		.amdhsa_system_sgpr_workgroup_info 0
		.amdhsa_system_vgpr_workitem_id 2
		.amdhsa_next_free_vgpr 15
		.amdhsa_next_free_sgpr 22
		.amdhsa_reserve_vcc 1
		.amdhsa_reserve_flat_scratch 0
		.amdhsa_float_round_mode_32 0
		.amdhsa_float_round_mode_16_64 0
		.amdhsa_float_denorm_mode_32 3
		.amdhsa_float_denorm_mode_16_64 3
		.amdhsa_dx10_clamp 1
		.amdhsa_ieee_mode 1
		.amdhsa_fp16_overflow 0
		.amdhsa_exception_fp_ieee_invalid_op 0
		.amdhsa_exception_fp_denorm_src 0
		.amdhsa_exception_fp_ieee_div_zero 0
		.amdhsa_exception_fp_ieee_overflow 0
		.amdhsa_exception_fp_ieee_underflow 0
		.amdhsa_exception_fp_ieee_inexact 0
		.amdhsa_exception_int_div_zero 0
	.end_amdhsa_kernel
	.section	.text._ZN4RAJA6policy3hip4impl18forallp_hip_kernelINS1_8hip_execINS_17iteration_mapping6DirectENS_3hip11IndexGlobalILNS_9named_dimE0ELi256ELi0EEENS7_40AvoidDeviceMaxThreadOccupancyConcretizerINS7_34FractionOffsetOccupancyConcretizerINS_8FractionImLm1ELm1EEELln1EEEEELb1EEENS_9Iterators16numeric_iteratorIllPlEEZN8rajaperf9algorithm10REDUCE_SUM26runHipVariantRAJANewReduceILm256ENSM_11gpu_mapping20global_direct_helperEEEvNSM_9VariantIDEEUllRNS_4expt5ValOpIdNS_9operators4plusEEEE_lNST_15ForallParamPackIJNST_6detail7ReducerINSW_IdddEEdSX_EEEEES6_SA_TnNSt9enable_ifIXaasr3std10is_base_ofINS5_10DirectBaseET4_EE5valuegtsrT5_10block_sizeLi0EEmE4typeELm256EEEvT1_T0_T2_T3_,"axG",@progbits,_ZN4RAJA6policy3hip4impl18forallp_hip_kernelINS1_8hip_execINS_17iteration_mapping6DirectENS_3hip11IndexGlobalILNS_9named_dimE0ELi256ELi0EEENS7_40AvoidDeviceMaxThreadOccupancyConcretizerINS7_34FractionOffsetOccupancyConcretizerINS_8FractionImLm1ELm1EEELln1EEEEELb1EEENS_9Iterators16numeric_iteratorIllPlEEZN8rajaperf9algorithm10REDUCE_SUM26runHipVariantRAJANewReduceILm256ENSM_11gpu_mapping20global_direct_helperEEEvNSM_9VariantIDEEUllRNS_4expt5ValOpIdNS_9operators4plusEEEE_lNST_15ForallParamPackIJNST_6detail7ReducerINSW_IdddEEdSX_EEEEES6_SA_TnNSt9enable_ifIXaasr3std10is_base_ofINS5_10DirectBaseET4_EE5valuegtsrT5_10block_sizeLi0EEmE4typeELm256EEEvT1_T0_T2_T3_,comdat
.Lfunc_end13:
	.size	_ZN4RAJA6policy3hip4impl18forallp_hip_kernelINS1_8hip_execINS_17iteration_mapping6DirectENS_3hip11IndexGlobalILNS_9named_dimE0ELi256ELi0EEENS7_40AvoidDeviceMaxThreadOccupancyConcretizerINS7_34FractionOffsetOccupancyConcretizerINS_8FractionImLm1ELm1EEELln1EEEEELb1EEENS_9Iterators16numeric_iteratorIllPlEEZN8rajaperf9algorithm10REDUCE_SUM26runHipVariantRAJANewReduceILm256ENSM_11gpu_mapping20global_direct_helperEEEvNSM_9VariantIDEEUllRNS_4expt5ValOpIdNS_9operators4plusEEEE_lNST_15ForallParamPackIJNST_6detail7ReducerINSW_IdddEEdSX_EEEEES6_SA_TnNSt9enable_ifIXaasr3std10is_base_ofINS5_10DirectBaseET4_EE5valuegtsrT5_10block_sizeLi0EEmE4typeELm256EEEvT1_T0_T2_T3_, .Lfunc_end13-_ZN4RAJA6policy3hip4impl18forallp_hip_kernelINS1_8hip_execINS_17iteration_mapping6DirectENS_3hip11IndexGlobalILNS_9named_dimE0ELi256ELi0EEENS7_40AvoidDeviceMaxThreadOccupancyConcretizerINS7_34FractionOffsetOccupancyConcretizerINS_8FractionImLm1ELm1EEELln1EEEEELb1EEENS_9Iterators16numeric_iteratorIllPlEEZN8rajaperf9algorithm10REDUCE_SUM26runHipVariantRAJANewReduceILm256ENSM_11gpu_mapping20global_direct_helperEEEvNSM_9VariantIDEEUllRNS_4expt5ValOpIdNS_9operators4plusEEEE_lNST_15ForallParamPackIJNST_6detail7ReducerINSW_IdddEEdSX_EEEEES6_SA_TnNSt9enable_ifIXaasr3std10is_base_ofINS5_10DirectBaseET4_EE5valuegtsrT5_10block_sizeLi0EEmE4typeELm256EEEvT1_T0_T2_T3_
                                        ; -- End function
	.set _ZN4RAJA6policy3hip4impl18forallp_hip_kernelINS1_8hip_execINS_17iteration_mapping6DirectENS_3hip11IndexGlobalILNS_9named_dimE0ELi256ELi0EEENS7_40AvoidDeviceMaxThreadOccupancyConcretizerINS7_34FractionOffsetOccupancyConcretizerINS_8FractionImLm1ELm1EEELln1EEEEELb1EEENS_9Iterators16numeric_iteratorIllPlEEZN8rajaperf9algorithm10REDUCE_SUM26runHipVariantRAJANewReduceILm256ENSM_11gpu_mapping20global_direct_helperEEEvNSM_9VariantIDEEUllRNS_4expt5ValOpIdNS_9operators4plusEEEE_lNST_15ForallParamPackIJNST_6detail7ReducerINSW_IdddEEdSX_EEEEES6_SA_TnNSt9enable_ifIXaasr3std10is_base_ofINS5_10DirectBaseET4_EE5valuegtsrT5_10block_sizeLi0EEmE4typeELm256EEEvT1_T0_T2_T3_.num_vgpr, 15
	.set _ZN4RAJA6policy3hip4impl18forallp_hip_kernelINS1_8hip_execINS_17iteration_mapping6DirectENS_3hip11IndexGlobalILNS_9named_dimE0ELi256ELi0EEENS7_40AvoidDeviceMaxThreadOccupancyConcretizerINS7_34FractionOffsetOccupancyConcretizerINS_8FractionImLm1ELm1EEELln1EEEEELb1EEENS_9Iterators16numeric_iteratorIllPlEEZN8rajaperf9algorithm10REDUCE_SUM26runHipVariantRAJANewReduceILm256ENSM_11gpu_mapping20global_direct_helperEEEvNSM_9VariantIDEEUllRNS_4expt5ValOpIdNS_9operators4plusEEEE_lNST_15ForallParamPackIJNST_6detail7ReducerINSW_IdddEEdSX_EEEEES6_SA_TnNSt9enable_ifIXaasr3std10is_base_ofINS5_10DirectBaseET4_EE5valuegtsrT5_10block_sizeLi0EEmE4typeELm256EEEvT1_T0_T2_T3_.num_agpr, 0
	.set _ZN4RAJA6policy3hip4impl18forallp_hip_kernelINS1_8hip_execINS_17iteration_mapping6DirectENS_3hip11IndexGlobalILNS_9named_dimE0ELi256ELi0EEENS7_40AvoidDeviceMaxThreadOccupancyConcretizerINS7_34FractionOffsetOccupancyConcretizerINS_8FractionImLm1ELm1EEELln1EEEEELb1EEENS_9Iterators16numeric_iteratorIllPlEEZN8rajaperf9algorithm10REDUCE_SUM26runHipVariantRAJANewReduceILm256ENSM_11gpu_mapping20global_direct_helperEEEvNSM_9VariantIDEEUllRNS_4expt5ValOpIdNS_9operators4plusEEEE_lNST_15ForallParamPackIJNST_6detail7ReducerINSW_IdddEEdSX_EEEEES6_SA_TnNSt9enable_ifIXaasr3std10is_base_ofINS5_10DirectBaseET4_EE5valuegtsrT5_10block_sizeLi0EEmE4typeELm256EEEvT1_T0_T2_T3_.numbered_sgpr, 22
	.set _ZN4RAJA6policy3hip4impl18forallp_hip_kernelINS1_8hip_execINS_17iteration_mapping6DirectENS_3hip11IndexGlobalILNS_9named_dimE0ELi256ELi0EEENS7_40AvoidDeviceMaxThreadOccupancyConcretizerINS7_34FractionOffsetOccupancyConcretizerINS_8FractionImLm1ELm1EEELln1EEEEELb1EEENS_9Iterators16numeric_iteratorIllPlEEZN8rajaperf9algorithm10REDUCE_SUM26runHipVariantRAJANewReduceILm256ENSM_11gpu_mapping20global_direct_helperEEEvNSM_9VariantIDEEUllRNS_4expt5ValOpIdNS_9operators4plusEEEE_lNST_15ForallParamPackIJNST_6detail7ReducerINSW_IdddEEdSX_EEEEES6_SA_TnNSt9enable_ifIXaasr3std10is_base_ofINS5_10DirectBaseET4_EE5valuegtsrT5_10block_sizeLi0EEmE4typeELm256EEEvT1_T0_T2_T3_.num_named_barrier, 0
	.set _ZN4RAJA6policy3hip4impl18forallp_hip_kernelINS1_8hip_execINS_17iteration_mapping6DirectENS_3hip11IndexGlobalILNS_9named_dimE0ELi256ELi0EEENS7_40AvoidDeviceMaxThreadOccupancyConcretizerINS7_34FractionOffsetOccupancyConcretizerINS_8FractionImLm1ELm1EEELln1EEEEELb1EEENS_9Iterators16numeric_iteratorIllPlEEZN8rajaperf9algorithm10REDUCE_SUM26runHipVariantRAJANewReduceILm256ENSM_11gpu_mapping20global_direct_helperEEEvNSM_9VariantIDEEUllRNS_4expt5ValOpIdNS_9operators4plusEEEE_lNST_15ForallParamPackIJNST_6detail7ReducerINSW_IdddEEdSX_EEEEES6_SA_TnNSt9enable_ifIXaasr3std10is_base_ofINS5_10DirectBaseET4_EE5valuegtsrT5_10block_sizeLi0EEmE4typeELm256EEEvT1_T0_T2_T3_.private_seg_size, 0
	.set _ZN4RAJA6policy3hip4impl18forallp_hip_kernelINS1_8hip_execINS_17iteration_mapping6DirectENS_3hip11IndexGlobalILNS_9named_dimE0ELi256ELi0EEENS7_40AvoidDeviceMaxThreadOccupancyConcretizerINS7_34FractionOffsetOccupancyConcretizerINS_8FractionImLm1ELm1EEELln1EEEEELb1EEENS_9Iterators16numeric_iteratorIllPlEEZN8rajaperf9algorithm10REDUCE_SUM26runHipVariantRAJANewReduceILm256ENSM_11gpu_mapping20global_direct_helperEEEvNSM_9VariantIDEEUllRNS_4expt5ValOpIdNS_9operators4plusEEEE_lNST_15ForallParamPackIJNST_6detail7ReducerINSW_IdddEEdSX_EEEEES6_SA_TnNSt9enable_ifIXaasr3std10is_base_ofINS5_10DirectBaseET4_EE5valuegtsrT5_10block_sizeLi0EEmE4typeELm256EEEvT1_T0_T2_T3_.uses_vcc, 1
	.set _ZN4RAJA6policy3hip4impl18forallp_hip_kernelINS1_8hip_execINS_17iteration_mapping6DirectENS_3hip11IndexGlobalILNS_9named_dimE0ELi256ELi0EEENS7_40AvoidDeviceMaxThreadOccupancyConcretizerINS7_34FractionOffsetOccupancyConcretizerINS_8FractionImLm1ELm1EEELln1EEEEELb1EEENS_9Iterators16numeric_iteratorIllPlEEZN8rajaperf9algorithm10REDUCE_SUM26runHipVariantRAJANewReduceILm256ENSM_11gpu_mapping20global_direct_helperEEEvNSM_9VariantIDEEUllRNS_4expt5ValOpIdNS_9operators4plusEEEE_lNST_15ForallParamPackIJNST_6detail7ReducerINSW_IdddEEdSX_EEEEES6_SA_TnNSt9enable_ifIXaasr3std10is_base_ofINS5_10DirectBaseET4_EE5valuegtsrT5_10block_sizeLi0EEmE4typeELm256EEEvT1_T0_T2_T3_.uses_flat_scratch, 0
	.set _ZN4RAJA6policy3hip4impl18forallp_hip_kernelINS1_8hip_execINS_17iteration_mapping6DirectENS_3hip11IndexGlobalILNS_9named_dimE0ELi256ELi0EEENS7_40AvoidDeviceMaxThreadOccupancyConcretizerINS7_34FractionOffsetOccupancyConcretizerINS_8FractionImLm1ELm1EEELln1EEEEELb1EEENS_9Iterators16numeric_iteratorIllPlEEZN8rajaperf9algorithm10REDUCE_SUM26runHipVariantRAJANewReduceILm256ENSM_11gpu_mapping20global_direct_helperEEEvNSM_9VariantIDEEUllRNS_4expt5ValOpIdNS_9operators4plusEEEE_lNST_15ForallParamPackIJNST_6detail7ReducerINSW_IdddEEdSX_EEEEES6_SA_TnNSt9enable_ifIXaasr3std10is_base_ofINS5_10DirectBaseET4_EE5valuegtsrT5_10block_sizeLi0EEmE4typeELm256EEEvT1_T0_T2_T3_.has_dyn_sized_stack, 0
	.set _ZN4RAJA6policy3hip4impl18forallp_hip_kernelINS1_8hip_execINS_17iteration_mapping6DirectENS_3hip11IndexGlobalILNS_9named_dimE0ELi256ELi0EEENS7_40AvoidDeviceMaxThreadOccupancyConcretizerINS7_34FractionOffsetOccupancyConcretizerINS_8FractionImLm1ELm1EEELln1EEEEELb1EEENS_9Iterators16numeric_iteratorIllPlEEZN8rajaperf9algorithm10REDUCE_SUM26runHipVariantRAJANewReduceILm256ENSM_11gpu_mapping20global_direct_helperEEEvNSM_9VariantIDEEUllRNS_4expt5ValOpIdNS_9operators4plusEEEE_lNST_15ForallParamPackIJNST_6detail7ReducerINSW_IdddEEdSX_EEEEES6_SA_TnNSt9enable_ifIXaasr3std10is_base_ofINS5_10DirectBaseET4_EE5valuegtsrT5_10block_sizeLi0EEmE4typeELm256EEEvT1_T0_T2_T3_.has_recursion, 0
	.set _ZN4RAJA6policy3hip4impl18forallp_hip_kernelINS1_8hip_execINS_17iteration_mapping6DirectENS_3hip11IndexGlobalILNS_9named_dimE0ELi256ELi0EEENS7_40AvoidDeviceMaxThreadOccupancyConcretizerINS7_34FractionOffsetOccupancyConcretizerINS_8FractionImLm1ELm1EEELln1EEEEELb1EEENS_9Iterators16numeric_iteratorIllPlEEZN8rajaperf9algorithm10REDUCE_SUM26runHipVariantRAJANewReduceILm256ENSM_11gpu_mapping20global_direct_helperEEEvNSM_9VariantIDEEUllRNS_4expt5ValOpIdNS_9operators4plusEEEE_lNST_15ForallParamPackIJNST_6detail7ReducerINSW_IdddEEdSX_EEEEES6_SA_TnNSt9enable_ifIXaasr3std10is_base_ofINS5_10DirectBaseET4_EE5valuegtsrT5_10block_sizeLi0EEmE4typeELm256EEEvT1_T0_T2_T3_.has_indirect_call, 0
	.section	.AMDGPU.csdata,"",@progbits
; Kernel info:
; codeLenInByte = 1592
; TotalNumSgprs: 26
; NumVgprs: 15
; ScratchSize: 0
; MemoryBound: 0
; FloatMode: 240
; IeeeMode: 1
; LDSByteSize: 384 bytes/workgroup (compile time only)
; SGPRBlocks: 3
; VGPRBlocks: 3
; NumSGPRsForWavesPerEU: 26
; NumVGPRsForWavesPerEU: 15
; Occupancy: 10
; WaveLimiterHint : 0
; COMPUTE_PGM_RSRC2:SCRATCH_EN: 0
; COMPUTE_PGM_RSRC2:USER_SGPR: 6
; COMPUTE_PGM_RSRC2:TRAP_HANDLER: 0
; COMPUTE_PGM_RSRC2:TGID_X_EN: 1
; COMPUTE_PGM_RSRC2:TGID_Y_EN: 0
; COMPUTE_PGM_RSRC2:TGID_Z_EN: 0
; COMPUTE_PGM_RSRC2:TIDIG_COMP_CNT: 2
	.section	.text._ZN4RAJA6policy3hip4impl18forallp_hip_kernelINS1_8hip_execINS_17iteration_mapping11StridedLoopILm0EEENS_3hip11IndexGlobalILNS_9named_dimE0ELi256ELi0EEENS8_40AvoidDeviceMaxThreadOccupancyConcretizerINS8_34FractionOffsetOccupancyConcretizerINS_8FractionImLm1ELm1EEELln1EEEEELb1EEENS_9Iterators16numeric_iteratorIllPlEEZN8rajaperf9algorithm10REDUCE_SUM17runHipVariantRAJAILm256ENSN_13gpu_algorithm19block_atomic_helperENSN_11gpu_mapping40global_loop_occupancy_grid_stride_helperEEEvNSN_9VariantIDEEUllE_lNS_4expt15ForallParamPackIJEEES7_SB_TnNSt9enable_ifIXaaaasr3std10is_base_ofINS5_15StridedLoopBaseET4_EE5valuesr3std10is_base_ofINS5_15UnsizedLoopBaseES12_EE5valuegtsrT5_10block_sizeLi0EEmE4typeELm256EEEvT1_T0_T2_T3_,"axG",@progbits,_ZN4RAJA6policy3hip4impl18forallp_hip_kernelINS1_8hip_execINS_17iteration_mapping11StridedLoopILm0EEENS_3hip11IndexGlobalILNS_9named_dimE0ELi256ELi0EEENS8_40AvoidDeviceMaxThreadOccupancyConcretizerINS8_34FractionOffsetOccupancyConcretizerINS_8FractionImLm1ELm1EEELln1EEEEELb1EEENS_9Iterators16numeric_iteratorIllPlEEZN8rajaperf9algorithm10REDUCE_SUM17runHipVariantRAJAILm256ENSN_13gpu_algorithm19block_atomic_helperENSN_11gpu_mapping40global_loop_occupancy_grid_stride_helperEEEvNSN_9VariantIDEEUllE_lNS_4expt15ForallParamPackIJEEES7_SB_TnNSt9enable_ifIXaaaasr3std10is_base_ofINS5_15StridedLoopBaseET4_EE5valuesr3std10is_base_ofINS5_15UnsizedLoopBaseES12_EE5valuegtsrT5_10block_sizeLi0EEmE4typeELm256EEEvT1_T0_T2_T3_,comdat
	.protected	_ZN4RAJA6policy3hip4impl18forallp_hip_kernelINS1_8hip_execINS_17iteration_mapping11StridedLoopILm0EEENS_3hip11IndexGlobalILNS_9named_dimE0ELi256ELi0EEENS8_40AvoidDeviceMaxThreadOccupancyConcretizerINS8_34FractionOffsetOccupancyConcretizerINS_8FractionImLm1ELm1EEELln1EEEEELb1EEENS_9Iterators16numeric_iteratorIllPlEEZN8rajaperf9algorithm10REDUCE_SUM17runHipVariantRAJAILm256ENSN_13gpu_algorithm19block_atomic_helperENSN_11gpu_mapping40global_loop_occupancy_grid_stride_helperEEEvNSN_9VariantIDEEUllE_lNS_4expt15ForallParamPackIJEEES7_SB_TnNSt9enable_ifIXaaaasr3std10is_base_ofINS5_15StridedLoopBaseET4_EE5valuesr3std10is_base_ofINS5_15UnsizedLoopBaseES12_EE5valuegtsrT5_10block_sizeLi0EEmE4typeELm256EEEvT1_T0_T2_T3_ ; -- Begin function _ZN4RAJA6policy3hip4impl18forallp_hip_kernelINS1_8hip_execINS_17iteration_mapping11StridedLoopILm0EEENS_3hip11IndexGlobalILNS_9named_dimE0ELi256ELi0EEENS8_40AvoidDeviceMaxThreadOccupancyConcretizerINS8_34FractionOffsetOccupancyConcretizerINS_8FractionImLm1ELm1EEELln1EEEEELb1EEENS_9Iterators16numeric_iteratorIllPlEEZN8rajaperf9algorithm10REDUCE_SUM17runHipVariantRAJAILm256ENSN_13gpu_algorithm19block_atomic_helperENSN_11gpu_mapping40global_loop_occupancy_grid_stride_helperEEEvNSN_9VariantIDEEUllE_lNS_4expt15ForallParamPackIJEEES7_SB_TnNSt9enable_ifIXaaaasr3std10is_base_ofINS5_15StridedLoopBaseET4_EE5valuesr3std10is_base_ofINS5_15UnsizedLoopBaseES12_EE5valuegtsrT5_10block_sizeLi0EEmE4typeELm256EEEvT1_T0_T2_T3_
	.globl	_ZN4RAJA6policy3hip4impl18forallp_hip_kernelINS1_8hip_execINS_17iteration_mapping11StridedLoopILm0EEENS_3hip11IndexGlobalILNS_9named_dimE0ELi256ELi0EEENS8_40AvoidDeviceMaxThreadOccupancyConcretizerINS8_34FractionOffsetOccupancyConcretizerINS_8FractionImLm1ELm1EEELln1EEEEELb1EEENS_9Iterators16numeric_iteratorIllPlEEZN8rajaperf9algorithm10REDUCE_SUM17runHipVariantRAJAILm256ENSN_13gpu_algorithm19block_atomic_helperENSN_11gpu_mapping40global_loop_occupancy_grid_stride_helperEEEvNSN_9VariantIDEEUllE_lNS_4expt15ForallParamPackIJEEES7_SB_TnNSt9enable_ifIXaaaasr3std10is_base_ofINS5_15StridedLoopBaseET4_EE5valuesr3std10is_base_ofINS5_15UnsizedLoopBaseES12_EE5valuegtsrT5_10block_sizeLi0EEmE4typeELm256EEEvT1_T0_T2_T3_
	.p2align	8
	.type	_ZN4RAJA6policy3hip4impl18forallp_hip_kernelINS1_8hip_execINS_17iteration_mapping11StridedLoopILm0EEENS_3hip11IndexGlobalILNS_9named_dimE0ELi256ELi0EEENS8_40AvoidDeviceMaxThreadOccupancyConcretizerINS8_34FractionOffsetOccupancyConcretizerINS_8FractionImLm1ELm1EEELln1EEEEELb1EEENS_9Iterators16numeric_iteratorIllPlEEZN8rajaperf9algorithm10REDUCE_SUM17runHipVariantRAJAILm256ENSN_13gpu_algorithm19block_atomic_helperENSN_11gpu_mapping40global_loop_occupancy_grid_stride_helperEEEvNSN_9VariantIDEEUllE_lNS_4expt15ForallParamPackIJEEES7_SB_TnNSt9enable_ifIXaaaasr3std10is_base_ofINS5_15StridedLoopBaseET4_EE5valuesr3std10is_base_ofINS5_15UnsizedLoopBaseES12_EE5valuegtsrT5_10block_sizeLi0EEmE4typeELm256EEEvT1_T0_T2_T3_,@function
_ZN4RAJA6policy3hip4impl18forallp_hip_kernelINS1_8hip_execINS_17iteration_mapping11StridedLoopILm0EEENS_3hip11IndexGlobalILNS_9named_dimE0ELi256ELi0EEENS8_40AvoidDeviceMaxThreadOccupancyConcretizerINS8_34FractionOffsetOccupancyConcretizerINS_8FractionImLm1ELm1EEELln1EEEEELb1EEENS_9Iterators16numeric_iteratorIllPlEEZN8rajaperf9algorithm10REDUCE_SUM17runHipVariantRAJAILm256ENSN_13gpu_algorithm19block_atomic_helperENSN_11gpu_mapping40global_loop_occupancy_grid_stride_helperEEEvNSN_9VariantIDEEUllE_lNS_4expt15ForallParamPackIJEEES7_SB_TnNSt9enable_ifIXaaaasr3std10is_base_ofINS5_15StridedLoopBaseET4_EE5valuesr3std10is_base_ofINS5_15UnsizedLoopBaseES12_EE5valuegtsrT5_10block_sizeLi0EEmE4typeELm256EEEvT1_T0_T2_T3_: ; @_ZN4RAJA6policy3hip4impl18forallp_hip_kernelINS1_8hip_execINS_17iteration_mapping11StridedLoopILm0EEENS_3hip11IndexGlobalILNS_9named_dimE0ELi256ELi0EEENS8_40AvoidDeviceMaxThreadOccupancyConcretizerINS8_34FractionOffsetOccupancyConcretizerINS_8FractionImLm1ELm1EEELln1EEEEELb1EEENS_9Iterators16numeric_iteratorIllPlEEZN8rajaperf9algorithm10REDUCE_SUM17runHipVariantRAJAILm256ENSN_13gpu_algorithm19block_atomic_helperENSN_11gpu_mapping40global_loop_occupancy_grid_stride_helperEEEvNSN_9VariantIDEEUllE_lNS_4expt15ForallParamPackIJEEES7_SB_TnNSt9enable_ifIXaaaasr3std10is_base_ofINS5_15StridedLoopBaseET4_EE5valuesr3std10is_base_ofINS5_15UnsizedLoopBaseES12_EE5valuegtsrT5_10block_sizeLi0EEmE4typeELm256EEEvT1_T0_T2_T3_
; %bb.0:
	s_load_dwordx2 s[10:11], s[4:5], 0x18
	s_load_dwordx2 s[12:13], s[4:5], 0x38
	s_mov_b32 s0, s7
	s_mov_b32 s7, 0
	s_lshl_b64 s[2:3], s[6:7], 8
	v_or_b32_e32 v5, s2, v0
	v_mov_b32_e32 v6, s3
	s_waitcnt lgkmcnt(0)
	v_cmp_gt_i64_e32 vcc, s[12:13], v[5:6]
	v_mov_b32_e32 v3, s10
	v_mov_b32_e32 v4, s11
	s_and_saveexec_b64 s[14:15], vcc
	s_cbranch_execz .LBB14_4
; %bb.1:
	s_load_dword s2, s[4:5], 0x48
	s_load_dwordx4 s[20:23], s[4:5], 0x28
	s_mov_b32 s3, s7
	s_lshl_b64 s[18:19], s[6:7], 11
	v_lshlrev_b32_e32 v3, 3, v0
	s_waitcnt lgkmcnt(0)
	s_lshl_b64 s[16:17], s[2:3], 8
	s_lshl_b64 s[22:23], s[22:23], 3
	s_add_u32 s1, s18, s22
	s_addc_u32 s7, s19, s23
	s_add_u32 s1, s20, s1
	s_addc_u32 s7, s21, s7
	v_mov_b32_e32 v4, s7
	v_add_co_u32_e32 v7, vcc, s1, v3
	v_addc_co_u32_e32 v8, vcc, 0, v4, vcc
	s_lshl_b64 s[20:21], s[2:3], 11
	v_mov_b32_e32 v3, s10
	s_mov_b64 s[18:19], 0
	v_mov_b32_e32 v4, s11
	v_mov_b32_e32 v9, s21
	;; [unrolled: 1-line block ×3, first 2 shown]
.LBB14_2:                               ; =>This Inner Loop Header: Depth=1
	global_load_dwordx2 v[11:12], v[7:8], off
	v_add_co_u32_e64 v5, s[2:3], s16, v5
	v_addc_co_u32_e64 v6, s[2:3], v6, v10, s[2:3]
	v_cmp_le_i64_e64 s[2:3], s[12:13], v[5:6]
	v_add_co_u32_e32 v7, vcc, s20, v7
	s_or_b64 s[18:19], s[2:3], s[18:19]
	v_addc_co_u32_e32 v8, vcc, v8, v9, vcc
	s_waitcnt vmcnt(0)
	v_add_f64 v[3:4], v[3:4], v[11:12]
	s_andn2_b64 exec, exec, s[18:19]
	s_cbranch_execnz .LBB14_2
; %bb.3:
	s_or_b64 exec, exec, s[18:19]
.LBB14_4:
	s_or_b64 exec, exec, s[14:15]
	s_load_dwordx4 s[12:15], s[4:5], 0x0
	s_waitcnt lgkmcnt(0)
	s_cmp_lg_u64 s[12:13], 0
	s_cbranch_scc1 .LBB14_19
; %bb.5:
	s_load_dwordx2 s[12:13], s[4:5], 0x48
	s_add_u32 s1, s4, 0x48
	v_mov_b32_e32 v5, 0
	s_addc_u32 s3, s5, 0
	global_load_dword v6, v5, s[4:5] offset:86
	s_waitcnt lgkmcnt(0)
	s_cmp_lt_u32 s6, s12
	s_cselect_b32 s2, 12, 18
	s_add_u32 s2, s1, s2
	s_addc_u32 s3, s3, 0
	global_load_ushort v5, v5, s[2:3]
	v_mbcnt_lo_u32_b32 v9, -1, 0
	v_mbcnt_hi_u32_b32 v9, -1, v9
	s_waitcnt vmcnt(1)
	v_readfirstlane_b32 s1, v6
	s_lshr_b32 s2, s1, 16
	s_and_b32 s1, s1, 0xffff
	s_waitcnt vmcnt(0)
	v_readfirstlane_b32 s3, v5
	s_mul_i32 s1, s1, s3
	v_mul_lo_u32 v8, s1, v2
	v_mad_u32_u24 v7, v1, v5, v0
	s_mul_i32 s2, s1, s2
	s_ashr_i32 s3, s2, 31
	s_and_b32 s1, s2, 63
	v_add_u32_e32 v2, v8, v7
	s_cmp_eq_u32 s1, 0
	v_ashrrev_i32_e32 v1, 31, v2
	s_cbranch_scc1 .LBB14_20
; %bb.6:
	v_and_b32_e32 v0, 64, v9
	v_xor_b32_e32 v10, 1, v2
	v_and_or_b32 v5, v10, 63, v0
	v_lshlrev_b32_e32 v6, 2, v5
	ds_bpermute_b32 v5, v6, v3
	ds_bpermute_b32 v6, v6, v4
	v_xor_b32_e32 v12, 2, v2
	v_and_or_b32 v11, v12, 63, v0
	v_cmp_gt_i32_e32 vcc, s2, v10
	v_lshlrev_b32_e32 v11, 2, v11
	s_waitcnt lgkmcnt(0)
	v_add_f64 v[5:6], v[3:4], v[5:6]
	v_xor_b32_e32 v13, 4, v2
	v_and_or_b32 v14, v13, 63, v0
	v_lshlrev_b32_e32 v14, 2, v14
	v_cndmask_b32_e32 v6, v4, v6, vcc
	v_cndmask_b32_e32 v5, v3, v5, vcc
	ds_bpermute_b32 v10, v11, v5
	ds_bpermute_b32 v11, v11, v6
	v_cmp_gt_i32_e32 vcc, s2, v12
	v_xor_b32_e32 v12, 8, v2
	s_waitcnt lgkmcnt(0)
	v_add_f64 v[10:11], v[5:6], v[10:11]
	v_cndmask_b32_e32 v6, v6, v11, vcc
	v_cndmask_b32_e32 v5, v5, v10, vcc
	ds_bpermute_b32 v10, v14, v5
	ds_bpermute_b32 v11, v14, v6
	v_and_or_b32 v14, v12, 63, v0
	v_cmp_gt_i32_e32 vcc, s2, v13
	v_lshlrev_b32_e32 v14, 2, v14
	v_xor_b32_e32 v13, 16, v2
	s_waitcnt lgkmcnt(0)
	v_add_f64 v[10:11], v[5:6], v[10:11]
	v_cndmask_b32_e32 v6, v6, v11, vcc
	v_cndmask_b32_e32 v5, v5, v10, vcc
	ds_bpermute_b32 v10, v14, v5
	ds_bpermute_b32 v11, v14, v6
	v_and_or_b32 v14, v13, 63, v0
	v_cmp_gt_i32_e32 vcc, s2, v12
	v_lshlrev_b32_e32 v14, 2, v14
	v_xor_b32_e32 v12, 32, v2
	s_waitcnt lgkmcnt(0)
	v_add_f64 v[10:11], v[5:6], v[10:11]
	v_and_or_b32 v0, v12, 63, v0
	v_lshlrev_b32_e32 v0, 2, v0
	v_cndmask_b32_e32 v6, v6, v11, vcc
	v_cndmask_b32_e32 v5, v5, v10, vcc
	ds_bpermute_b32 v10, v14, v5
	ds_bpermute_b32 v11, v14, v6
	v_cmp_gt_i32_e32 vcc, s2, v13
	s_waitcnt lgkmcnt(0)
	v_add_f64 v[10:11], v[5:6], v[10:11]
	v_cndmask_b32_e32 v6, v6, v11, vcc
	v_cndmask_b32_e32 v5, v5, v10, vcc
	ds_bpermute_b32 v10, v0, v5
	ds_bpermute_b32 v11, v0, v6
	v_cmp_gt_i32_e32 vcc, s2, v12
	s_waitcnt lgkmcnt(0)
	v_add_f64 v[10:11], v[5:6], v[10:11]
	v_cndmask_b32_e32 v6, v6, v11, vcc
	v_cndmask_b32_e32 v5, v5, v10, vcc
	s_cbranch_execnz .LBB14_8
.LBB14_7:
	v_and_b32_e32 v0, 64, v9
	v_add_u32_e32 v0, 64, v0
	v_xor_b32_e32 v5, 1, v9
	v_cmp_lt_i32_e32 vcc, v5, v0
	v_cndmask_b32_e32 v5, v9, v5, vcc
	v_lshlrev_b32_e32 v6, 2, v5
	ds_bpermute_b32 v5, v6, v3
	ds_bpermute_b32 v6, v6, v4
	s_waitcnt lgkmcnt(0)
	v_add_f64 v[3:4], v[3:4], v[5:6]
	v_xor_b32_e32 v5, 2, v9
	v_cmp_lt_i32_e32 vcc, v5, v0
	v_cndmask_b32_e32 v5, v9, v5, vcc
	v_lshlrev_b32_e32 v6, 2, v5
	ds_bpermute_b32 v5, v6, v3
	ds_bpermute_b32 v6, v6, v4
	s_waitcnt lgkmcnt(0)
	v_add_f64 v[3:4], v[3:4], v[5:6]
	;; [unrolled: 8-line block ×6, first 2 shown]
.LBB14_8:
	s_cmpk_lt_i32 s2, 0x41
	s_cbranch_scc1 .LBB14_16
; %bb.9:
	v_lshrrev_b32_e32 v0, 26, v1
	v_add_u32_e32 v3, v2, v0
	v_and_b32_e32 v0, 0xffffffc0, v3
	v_sub_u32_e32 v0, v2, v0
	v_cmp_eq_u32_e32 vcc, 0, v0
	s_and_saveexec_b64 s[4:5], vcc
; %bb.10:
	v_ashrrev_i32_e32 v3, 6, v3
	v_lshlrev_b32_e32 v3, 3, v3
	ds_write_b64 v3, v[5:6]
; %bb.11:
	s_or_b64 exec, exec, s[4:5]
	v_add_co_u32_e32 v2, vcc, 63, v2
	v_addc_co_u32_e32 v3, vcc, 0, v1, vcc
	s_mov_b64 s[4:5], 0x7f
	v_cmp_gt_u64_e32 vcc, s[4:5], v[2:3]
	s_waitcnt lgkmcnt(0)
	s_barrier
	s_and_saveexec_b64 s[4:5], vcc
	s_cbranch_execz .LBB14_15
; %bb.12:
	v_ashrrev_i32_e32 v1, 31, v0
	v_lshlrev_b64 v[1:2], 6, v[0:1]
	v_cmp_gt_i64_e32 vcc, s[2:3], v[1:2]
	v_mov_b32_e32 v1, s10
	v_mov_b32_e32 v2, s11
	s_and_saveexec_b64 s[2:3], vcc
; %bb.13:
	v_lshlrev_b32_e32 v0, 3, v0
	ds_read_b64 v[1:2], v0
; %bb.14:
	s_or_b64 exec, exec, s[2:3]
	v_and_b32_e32 v0, 64, v9
	v_add_u32_e32 v5, 64, v0
	v_xor_b32_e32 v0, 1, v9
	v_cmp_lt_i32_e32 vcc, v0, v5
	v_cndmask_b32_e32 v0, v9, v0, vcc
	v_lshlrev_b32_e32 v0, 2, v0
	s_waitcnt lgkmcnt(0)
	ds_bpermute_b32 v3, v0, v1
	ds_bpermute_b32 v4, v0, v2
	s_waitcnt lgkmcnt(0)
	v_add_f64 v[0:1], v[1:2], v[3:4]
	v_xor_b32_e32 v2, 2, v9
	v_cmp_lt_i32_e32 vcc, v2, v5
	v_cndmask_b32_e32 v2, v9, v2, vcc
	v_lshlrev_b32_e32 v3, 2, v2
	ds_bpermute_b32 v2, v3, v0
	ds_bpermute_b32 v3, v3, v1
	s_waitcnt lgkmcnt(0)
	v_add_f64 v[0:1], v[0:1], v[2:3]
	v_xor_b32_e32 v2, 4, v9
	v_cmp_lt_i32_e32 vcc, v2, v5
	v_cndmask_b32_e32 v2, v9, v2, vcc
	v_lshlrev_b32_e32 v3, 2, v2
	;; [unrolled: 8-line block ×3, first 2 shown]
	ds_bpermute_b32 v2, v3, v0
	ds_bpermute_b32 v3, v3, v1
	s_waitcnt lgkmcnt(0)
	v_add_f64 v[5:6], v[0:1], v[2:3]
.LBB14_15:
	s_or_b64 exec, exec, s[4:5]
	s_barrier
.LBB14_16:
	v_cmp_neq_f64_e32 vcc, s[10:11], v[5:6]
	v_sub_u32_e32 v0, 0, v8
	v_cmp_eq_u32_e64 s[2:3], v7, v0
	s_and_b64 s[2:3], s[2:3], vcc
	s_and_saveexec_b64 s[4:5], s[2:3]
	s_cbranch_execz .LBB14_19
; %bb.17:
	s_mul_i32 s1, s13, s8
	s_add_i32 s0, s1, s0
	s_mul_i32 s0, s0, s12
	s_add_i32 s0, s0, s6
	s_ashr_i32 s1, s0, 31
	s_lshr_b32 s1, s1, 27
	s_add_i32 s1, s0, s1
	s_and_b32 s1, s1, 0x1fffffe0
	s_sub_i32 s0, s0, s1
	s_lshl_b32 s0, s0, 3
	s_ashr_i32 s1, s0, 31
	s_lshl_b64 s[0:1], s[0:1], 3
	s_add_u32 s0, s14, s0
	s_addc_u32 s1, s15, s1
	v_mov_b32_e32 v8, s1
	v_mov_b32_e32 v7, s0
	flat_load_dwordx2 v[2:3], v[7:8]
	s_mov_b64 s[0:1], 0
.LBB14_18:                              ; =>This Inner Loop Header: Depth=1
	s_waitcnt vmcnt(0) lgkmcnt(0)
	v_add_f64 v[0:1], v[2:3], v[5:6]
	flat_atomic_cmpswap_x2 v[0:1], v[7:8], v[0:3] glc
	s_waitcnt vmcnt(0) lgkmcnt(0)
	v_cmp_eq_u64_e32 vcc, v[0:1], v[2:3]
	v_mov_b32_e32 v3, v1
	s_or_b64 s[0:1], vcc, s[0:1]
	v_mov_b32_e32 v2, v0
	s_andn2_b64 exec, exec, s[0:1]
	s_cbranch_execnz .LBB14_18
.LBB14_19:
	s_endpgm
.LBB14_20:
                                        ; implicit-def: $vgpr5_vgpr6
	s_branch .LBB14_7
	.section	.rodata,"a",@progbits
	.p2align	6, 0x0
	.amdhsa_kernel _ZN4RAJA6policy3hip4impl18forallp_hip_kernelINS1_8hip_execINS_17iteration_mapping11StridedLoopILm0EEENS_3hip11IndexGlobalILNS_9named_dimE0ELi256ELi0EEENS8_40AvoidDeviceMaxThreadOccupancyConcretizerINS8_34FractionOffsetOccupancyConcretizerINS_8FractionImLm1ELm1EEELln1EEEEELb1EEENS_9Iterators16numeric_iteratorIllPlEEZN8rajaperf9algorithm10REDUCE_SUM17runHipVariantRAJAILm256ENSN_13gpu_algorithm19block_atomic_helperENSN_11gpu_mapping40global_loop_occupancy_grid_stride_helperEEEvNSN_9VariantIDEEUllE_lNS_4expt15ForallParamPackIJEEES7_SB_TnNSt9enable_ifIXaaaasr3std10is_base_ofINS5_15StridedLoopBaseET4_EE5valuesr3std10is_base_ofINS5_15UnsizedLoopBaseES12_EE5valuegtsrT5_10block_sizeLi0EEmE4typeELm256EEEvT1_T0_T2_T3_
		.amdhsa_group_segment_fixed_size 128
		.amdhsa_private_segment_fixed_size 0
		.amdhsa_kernarg_size 328
		.amdhsa_user_sgpr_count 6
		.amdhsa_user_sgpr_private_segment_buffer 1
		.amdhsa_user_sgpr_dispatch_ptr 0
		.amdhsa_user_sgpr_queue_ptr 0
		.amdhsa_user_sgpr_kernarg_segment_ptr 1
		.amdhsa_user_sgpr_dispatch_id 0
		.amdhsa_user_sgpr_flat_scratch_init 0
		.amdhsa_user_sgpr_private_segment_size 0
		.amdhsa_uses_dynamic_stack 0
		.amdhsa_system_sgpr_private_segment_wavefront_offset 0
		.amdhsa_system_sgpr_workgroup_id_x 1
		.amdhsa_system_sgpr_workgroup_id_y 1
		.amdhsa_system_sgpr_workgroup_id_z 1
		.amdhsa_system_sgpr_workgroup_info 0
		.amdhsa_system_vgpr_workitem_id 2
		.amdhsa_next_free_vgpr 15
		.amdhsa_next_free_sgpr 24
		.amdhsa_reserve_vcc 1
		.amdhsa_reserve_flat_scratch 0
		.amdhsa_float_round_mode_32 0
		.amdhsa_float_round_mode_16_64 0
		.amdhsa_float_denorm_mode_32 3
		.amdhsa_float_denorm_mode_16_64 3
		.amdhsa_dx10_clamp 1
		.amdhsa_ieee_mode 1
		.amdhsa_fp16_overflow 0
		.amdhsa_exception_fp_ieee_invalid_op 0
		.amdhsa_exception_fp_denorm_src 0
		.amdhsa_exception_fp_ieee_div_zero 0
		.amdhsa_exception_fp_ieee_overflow 0
		.amdhsa_exception_fp_ieee_underflow 0
		.amdhsa_exception_fp_ieee_inexact 0
		.amdhsa_exception_int_div_zero 0
	.end_amdhsa_kernel
	.section	.text._ZN4RAJA6policy3hip4impl18forallp_hip_kernelINS1_8hip_execINS_17iteration_mapping11StridedLoopILm0EEENS_3hip11IndexGlobalILNS_9named_dimE0ELi256ELi0EEENS8_40AvoidDeviceMaxThreadOccupancyConcretizerINS8_34FractionOffsetOccupancyConcretizerINS_8FractionImLm1ELm1EEELln1EEEEELb1EEENS_9Iterators16numeric_iteratorIllPlEEZN8rajaperf9algorithm10REDUCE_SUM17runHipVariantRAJAILm256ENSN_13gpu_algorithm19block_atomic_helperENSN_11gpu_mapping40global_loop_occupancy_grid_stride_helperEEEvNSN_9VariantIDEEUllE_lNS_4expt15ForallParamPackIJEEES7_SB_TnNSt9enable_ifIXaaaasr3std10is_base_ofINS5_15StridedLoopBaseET4_EE5valuesr3std10is_base_ofINS5_15UnsizedLoopBaseES12_EE5valuegtsrT5_10block_sizeLi0EEmE4typeELm256EEEvT1_T0_T2_T3_,"axG",@progbits,_ZN4RAJA6policy3hip4impl18forallp_hip_kernelINS1_8hip_execINS_17iteration_mapping11StridedLoopILm0EEENS_3hip11IndexGlobalILNS_9named_dimE0ELi256ELi0EEENS8_40AvoidDeviceMaxThreadOccupancyConcretizerINS8_34FractionOffsetOccupancyConcretizerINS_8FractionImLm1ELm1EEELln1EEEEELb1EEENS_9Iterators16numeric_iteratorIllPlEEZN8rajaperf9algorithm10REDUCE_SUM17runHipVariantRAJAILm256ENSN_13gpu_algorithm19block_atomic_helperENSN_11gpu_mapping40global_loop_occupancy_grid_stride_helperEEEvNSN_9VariantIDEEUllE_lNS_4expt15ForallParamPackIJEEES7_SB_TnNSt9enable_ifIXaaaasr3std10is_base_ofINS5_15StridedLoopBaseET4_EE5valuesr3std10is_base_ofINS5_15UnsizedLoopBaseES12_EE5valuegtsrT5_10block_sizeLi0EEmE4typeELm256EEEvT1_T0_T2_T3_,comdat
.Lfunc_end14:
	.size	_ZN4RAJA6policy3hip4impl18forallp_hip_kernelINS1_8hip_execINS_17iteration_mapping11StridedLoopILm0EEENS_3hip11IndexGlobalILNS_9named_dimE0ELi256ELi0EEENS8_40AvoidDeviceMaxThreadOccupancyConcretizerINS8_34FractionOffsetOccupancyConcretizerINS_8FractionImLm1ELm1EEELln1EEEEELb1EEENS_9Iterators16numeric_iteratorIllPlEEZN8rajaperf9algorithm10REDUCE_SUM17runHipVariantRAJAILm256ENSN_13gpu_algorithm19block_atomic_helperENSN_11gpu_mapping40global_loop_occupancy_grid_stride_helperEEEvNSN_9VariantIDEEUllE_lNS_4expt15ForallParamPackIJEEES7_SB_TnNSt9enable_ifIXaaaasr3std10is_base_ofINS5_15StridedLoopBaseET4_EE5valuesr3std10is_base_ofINS5_15UnsizedLoopBaseES12_EE5valuegtsrT5_10block_sizeLi0EEmE4typeELm256EEEvT1_T0_T2_T3_, .Lfunc_end14-_ZN4RAJA6policy3hip4impl18forallp_hip_kernelINS1_8hip_execINS_17iteration_mapping11StridedLoopILm0EEENS_3hip11IndexGlobalILNS_9named_dimE0ELi256ELi0EEENS8_40AvoidDeviceMaxThreadOccupancyConcretizerINS8_34FractionOffsetOccupancyConcretizerINS_8FractionImLm1ELm1EEELln1EEEEELb1EEENS_9Iterators16numeric_iteratorIllPlEEZN8rajaperf9algorithm10REDUCE_SUM17runHipVariantRAJAILm256ENSN_13gpu_algorithm19block_atomic_helperENSN_11gpu_mapping40global_loop_occupancy_grid_stride_helperEEEvNSN_9VariantIDEEUllE_lNS_4expt15ForallParamPackIJEEES7_SB_TnNSt9enable_ifIXaaaasr3std10is_base_ofINS5_15StridedLoopBaseET4_EE5valuesr3std10is_base_ofINS5_15UnsizedLoopBaseES12_EE5valuegtsrT5_10block_sizeLi0EEmE4typeELm256EEEvT1_T0_T2_T3_
                                        ; -- End function
	.set _ZN4RAJA6policy3hip4impl18forallp_hip_kernelINS1_8hip_execINS_17iteration_mapping11StridedLoopILm0EEENS_3hip11IndexGlobalILNS_9named_dimE0ELi256ELi0EEENS8_40AvoidDeviceMaxThreadOccupancyConcretizerINS8_34FractionOffsetOccupancyConcretizerINS_8FractionImLm1ELm1EEELln1EEEEELb1EEENS_9Iterators16numeric_iteratorIllPlEEZN8rajaperf9algorithm10REDUCE_SUM17runHipVariantRAJAILm256ENSN_13gpu_algorithm19block_atomic_helperENSN_11gpu_mapping40global_loop_occupancy_grid_stride_helperEEEvNSN_9VariantIDEEUllE_lNS_4expt15ForallParamPackIJEEES7_SB_TnNSt9enable_ifIXaaaasr3std10is_base_ofINS5_15StridedLoopBaseET4_EE5valuesr3std10is_base_ofINS5_15UnsizedLoopBaseES12_EE5valuegtsrT5_10block_sizeLi0EEmE4typeELm256EEEvT1_T0_T2_T3_.num_vgpr, 15
	.set _ZN4RAJA6policy3hip4impl18forallp_hip_kernelINS1_8hip_execINS_17iteration_mapping11StridedLoopILm0EEENS_3hip11IndexGlobalILNS_9named_dimE0ELi256ELi0EEENS8_40AvoidDeviceMaxThreadOccupancyConcretizerINS8_34FractionOffsetOccupancyConcretizerINS_8FractionImLm1ELm1EEELln1EEEEELb1EEENS_9Iterators16numeric_iteratorIllPlEEZN8rajaperf9algorithm10REDUCE_SUM17runHipVariantRAJAILm256ENSN_13gpu_algorithm19block_atomic_helperENSN_11gpu_mapping40global_loop_occupancy_grid_stride_helperEEEvNSN_9VariantIDEEUllE_lNS_4expt15ForallParamPackIJEEES7_SB_TnNSt9enable_ifIXaaaasr3std10is_base_ofINS5_15StridedLoopBaseET4_EE5valuesr3std10is_base_ofINS5_15UnsizedLoopBaseES12_EE5valuegtsrT5_10block_sizeLi0EEmE4typeELm256EEEvT1_T0_T2_T3_.num_agpr, 0
	.set _ZN4RAJA6policy3hip4impl18forallp_hip_kernelINS1_8hip_execINS_17iteration_mapping11StridedLoopILm0EEENS_3hip11IndexGlobalILNS_9named_dimE0ELi256ELi0EEENS8_40AvoidDeviceMaxThreadOccupancyConcretizerINS8_34FractionOffsetOccupancyConcretizerINS_8FractionImLm1ELm1EEELln1EEEEELb1EEENS_9Iterators16numeric_iteratorIllPlEEZN8rajaperf9algorithm10REDUCE_SUM17runHipVariantRAJAILm256ENSN_13gpu_algorithm19block_atomic_helperENSN_11gpu_mapping40global_loop_occupancy_grid_stride_helperEEEvNSN_9VariantIDEEUllE_lNS_4expt15ForallParamPackIJEEES7_SB_TnNSt9enable_ifIXaaaasr3std10is_base_ofINS5_15StridedLoopBaseET4_EE5valuesr3std10is_base_ofINS5_15UnsizedLoopBaseES12_EE5valuegtsrT5_10block_sizeLi0EEmE4typeELm256EEEvT1_T0_T2_T3_.numbered_sgpr, 24
	.set _ZN4RAJA6policy3hip4impl18forallp_hip_kernelINS1_8hip_execINS_17iteration_mapping11StridedLoopILm0EEENS_3hip11IndexGlobalILNS_9named_dimE0ELi256ELi0EEENS8_40AvoidDeviceMaxThreadOccupancyConcretizerINS8_34FractionOffsetOccupancyConcretizerINS_8FractionImLm1ELm1EEELln1EEEEELb1EEENS_9Iterators16numeric_iteratorIllPlEEZN8rajaperf9algorithm10REDUCE_SUM17runHipVariantRAJAILm256ENSN_13gpu_algorithm19block_atomic_helperENSN_11gpu_mapping40global_loop_occupancy_grid_stride_helperEEEvNSN_9VariantIDEEUllE_lNS_4expt15ForallParamPackIJEEES7_SB_TnNSt9enable_ifIXaaaasr3std10is_base_ofINS5_15StridedLoopBaseET4_EE5valuesr3std10is_base_ofINS5_15UnsizedLoopBaseES12_EE5valuegtsrT5_10block_sizeLi0EEmE4typeELm256EEEvT1_T0_T2_T3_.num_named_barrier, 0
	.set _ZN4RAJA6policy3hip4impl18forallp_hip_kernelINS1_8hip_execINS_17iteration_mapping11StridedLoopILm0EEENS_3hip11IndexGlobalILNS_9named_dimE0ELi256ELi0EEENS8_40AvoidDeviceMaxThreadOccupancyConcretizerINS8_34FractionOffsetOccupancyConcretizerINS_8FractionImLm1ELm1EEELln1EEEEELb1EEENS_9Iterators16numeric_iteratorIllPlEEZN8rajaperf9algorithm10REDUCE_SUM17runHipVariantRAJAILm256ENSN_13gpu_algorithm19block_atomic_helperENSN_11gpu_mapping40global_loop_occupancy_grid_stride_helperEEEvNSN_9VariantIDEEUllE_lNS_4expt15ForallParamPackIJEEES7_SB_TnNSt9enable_ifIXaaaasr3std10is_base_ofINS5_15StridedLoopBaseET4_EE5valuesr3std10is_base_ofINS5_15UnsizedLoopBaseES12_EE5valuegtsrT5_10block_sizeLi0EEmE4typeELm256EEEvT1_T0_T2_T3_.private_seg_size, 0
	.set _ZN4RAJA6policy3hip4impl18forallp_hip_kernelINS1_8hip_execINS_17iteration_mapping11StridedLoopILm0EEENS_3hip11IndexGlobalILNS_9named_dimE0ELi256ELi0EEENS8_40AvoidDeviceMaxThreadOccupancyConcretizerINS8_34FractionOffsetOccupancyConcretizerINS_8FractionImLm1ELm1EEELln1EEEEELb1EEENS_9Iterators16numeric_iteratorIllPlEEZN8rajaperf9algorithm10REDUCE_SUM17runHipVariantRAJAILm256ENSN_13gpu_algorithm19block_atomic_helperENSN_11gpu_mapping40global_loop_occupancy_grid_stride_helperEEEvNSN_9VariantIDEEUllE_lNS_4expt15ForallParamPackIJEEES7_SB_TnNSt9enable_ifIXaaaasr3std10is_base_ofINS5_15StridedLoopBaseET4_EE5valuesr3std10is_base_ofINS5_15UnsizedLoopBaseES12_EE5valuegtsrT5_10block_sizeLi0EEmE4typeELm256EEEvT1_T0_T2_T3_.uses_vcc, 1
	.set _ZN4RAJA6policy3hip4impl18forallp_hip_kernelINS1_8hip_execINS_17iteration_mapping11StridedLoopILm0EEENS_3hip11IndexGlobalILNS_9named_dimE0ELi256ELi0EEENS8_40AvoidDeviceMaxThreadOccupancyConcretizerINS8_34FractionOffsetOccupancyConcretizerINS_8FractionImLm1ELm1EEELln1EEEEELb1EEENS_9Iterators16numeric_iteratorIllPlEEZN8rajaperf9algorithm10REDUCE_SUM17runHipVariantRAJAILm256ENSN_13gpu_algorithm19block_atomic_helperENSN_11gpu_mapping40global_loop_occupancy_grid_stride_helperEEEvNSN_9VariantIDEEUllE_lNS_4expt15ForallParamPackIJEEES7_SB_TnNSt9enable_ifIXaaaasr3std10is_base_ofINS5_15StridedLoopBaseET4_EE5valuesr3std10is_base_ofINS5_15UnsizedLoopBaseES12_EE5valuegtsrT5_10block_sizeLi0EEmE4typeELm256EEEvT1_T0_T2_T3_.uses_flat_scratch, 0
	.set _ZN4RAJA6policy3hip4impl18forallp_hip_kernelINS1_8hip_execINS_17iteration_mapping11StridedLoopILm0EEENS_3hip11IndexGlobalILNS_9named_dimE0ELi256ELi0EEENS8_40AvoidDeviceMaxThreadOccupancyConcretizerINS8_34FractionOffsetOccupancyConcretizerINS_8FractionImLm1ELm1EEELln1EEEEELb1EEENS_9Iterators16numeric_iteratorIllPlEEZN8rajaperf9algorithm10REDUCE_SUM17runHipVariantRAJAILm256ENSN_13gpu_algorithm19block_atomic_helperENSN_11gpu_mapping40global_loop_occupancy_grid_stride_helperEEEvNSN_9VariantIDEEUllE_lNS_4expt15ForallParamPackIJEEES7_SB_TnNSt9enable_ifIXaaaasr3std10is_base_ofINS5_15StridedLoopBaseET4_EE5valuesr3std10is_base_ofINS5_15UnsizedLoopBaseES12_EE5valuegtsrT5_10block_sizeLi0EEmE4typeELm256EEEvT1_T0_T2_T3_.has_dyn_sized_stack, 0
	.set _ZN4RAJA6policy3hip4impl18forallp_hip_kernelINS1_8hip_execINS_17iteration_mapping11StridedLoopILm0EEENS_3hip11IndexGlobalILNS_9named_dimE0ELi256ELi0EEENS8_40AvoidDeviceMaxThreadOccupancyConcretizerINS8_34FractionOffsetOccupancyConcretizerINS_8FractionImLm1ELm1EEELln1EEEEELb1EEENS_9Iterators16numeric_iteratorIllPlEEZN8rajaperf9algorithm10REDUCE_SUM17runHipVariantRAJAILm256ENSN_13gpu_algorithm19block_atomic_helperENSN_11gpu_mapping40global_loop_occupancy_grid_stride_helperEEEvNSN_9VariantIDEEUllE_lNS_4expt15ForallParamPackIJEEES7_SB_TnNSt9enable_ifIXaaaasr3std10is_base_ofINS5_15StridedLoopBaseET4_EE5valuesr3std10is_base_ofINS5_15UnsizedLoopBaseES12_EE5valuegtsrT5_10block_sizeLi0EEmE4typeELm256EEEvT1_T0_T2_T3_.has_recursion, 0
	.set _ZN4RAJA6policy3hip4impl18forallp_hip_kernelINS1_8hip_execINS_17iteration_mapping11StridedLoopILm0EEENS_3hip11IndexGlobalILNS_9named_dimE0ELi256ELi0EEENS8_40AvoidDeviceMaxThreadOccupancyConcretizerINS8_34FractionOffsetOccupancyConcretizerINS_8FractionImLm1ELm1EEELln1EEEEELb1EEENS_9Iterators16numeric_iteratorIllPlEEZN8rajaperf9algorithm10REDUCE_SUM17runHipVariantRAJAILm256ENSN_13gpu_algorithm19block_atomic_helperENSN_11gpu_mapping40global_loop_occupancy_grid_stride_helperEEEvNSN_9VariantIDEEUllE_lNS_4expt15ForallParamPackIJEEES7_SB_TnNSt9enable_ifIXaaaasr3std10is_base_ofINS5_15StridedLoopBaseET4_EE5valuesr3std10is_base_ofINS5_15UnsizedLoopBaseES12_EE5valuegtsrT5_10block_sizeLi0EEmE4typeELm256EEEvT1_T0_T2_T3_.has_indirect_call, 0
	.section	.AMDGPU.csdata,"",@progbits
; Kernel info:
; codeLenInByte = 1508
; TotalNumSgprs: 28
; NumVgprs: 15
; ScratchSize: 0
; MemoryBound: 0
; FloatMode: 240
; IeeeMode: 1
; LDSByteSize: 128 bytes/workgroup (compile time only)
; SGPRBlocks: 3
; VGPRBlocks: 3
; NumSGPRsForWavesPerEU: 28
; NumVGPRsForWavesPerEU: 15
; Occupancy: 10
; WaveLimiterHint : 0
; COMPUTE_PGM_RSRC2:SCRATCH_EN: 0
; COMPUTE_PGM_RSRC2:USER_SGPR: 6
; COMPUTE_PGM_RSRC2:TRAP_HANDLER: 0
; COMPUTE_PGM_RSRC2:TGID_X_EN: 1
; COMPUTE_PGM_RSRC2:TGID_Y_EN: 1
; COMPUTE_PGM_RSRC2:TGID_Z_EN: 1
; COMPUTE_PGM_RSRC2:TIDIG_COMP_CNT: 2
	.section	.text._ZN4RAJA6policy3hip4impl18forallp_hip_kernelINS1_8hip_execINS_17iteration_mapping11StridedLoopILm0EEENS_3hip11IndexGlobalILNS_9named_dimE0ELi256ELi0EEENS8_40AvoidDeviceMaxThreadOccupancyConcretizerINS8_34FractionOffsetOccupancyConcretizerINS_8FractionImLm1ELm1EEELln1EEEEELb1EEENS_9Iterators16numeric_iteratorIllPlEEZN8rajaperf9algorithm10REDUCE_SUM17runHipVariantRAJAILm256ENSN_13gpu_algorithm19block_device_helperENSN_11gpu_mapping40global_loop_occupancy_grid_stride_helperEEEvNSN_9VariantIDEEUllE_lNS_4expt15ForallParamPackIJEEES7_SB_TnNSt9enable_ifIXaaaasr3std10is_base_ofINS5_15StridedLoopBaseET4_EE5valuesr3std10is_base_ofINS5_15UnsizedLoopBaseES12_EE5valuegtsrT5_10block_sizeLi0EEmE4typeELm256EEEvT1_T0_T2_T3_,"axG",@progbits,_ZN4RAJA6policy3hip4impl18forallp_hip_kernelINS1_8hip_execINS_17iteration_mapping11StridedLoopILm0EEENS_3hip11IndexGlobalILNS_9named_dimE0ELi256ELi0EEENS8_40AvoidDeviceMaxThreadOccupancyConcretizerINS8_34FractionOffsetOccupancyConcretizerINS_8FractionImLm1ELm1EEELln1EEEEELb1EEENS_9Iterators16numeric_iteratorIllPlEEZN8rajaperf9algorithm10REDUCE_SUM17runHipVariantRAJAILm256ENSN_13gpu_algorithm19block_device_helperENSN_11gpu_mapping40global_loop_occupancy_grid_stride_helperEEEvNSN_9VariantIDEEUllE_lNS_4expt15ForallParamPackIJEEES7_SB_TnNSt9enable_ifIXaaaasr3std10is_base_ofINS5_15StridedLoopBaseET4_EE5valuesr3std10is_base_ofINS5_15UnsizedLoopBaseES12_EE5valuegtsrT5_10block_sizeLi0EEmE4typeELm256EEEvT1_T0_T2_T3_,comdat
	.protected	_ZN4RAJA6policy3hip4impl18forallp_hip_kernelINS1_8hip_execINS_17iteration_mapping11StridedLoopILm0EEENS_3hip11IndexGlobalILNS_9named_dimE0ELi256ELi0EEENS8_40AvoidDeviceMaxThreadOccupancyConcretizerINS8_34FractionOffsetOccupancyConcretizerINS_8FractionImLm1ELm1EEELln1EEEEELb1EEENS_9Iterators16numeric_iteratorIllPlEEZN8rajaperf9algorithm10REDUCE_SUM17runHipVariantRAJAILm256ENSN_13gpu_algorithm19block_device_helperENSN_11gpu_mapping40global_loop_occupancy_grid_stride_helperEEEvNSN_9VariantIDEEUllE_lNS_4expt15ForallParamPackIJEEES7_SB_TnNSt9enable_ifIXaaaasr3std10is_base_ofINS5_15StridedLoopBaseET4_EE5valuesr3std10is_base_ofINS5_15UnsizedLoopBaseES12_EE5valuegtsrT5_10block_sizeLi0EEmE4typeELm256EEEvT1_T0_T2_T3_ ; -- Begin function _ZN4RAJA6policy3hip4impl18forallp_hip_kernelINS1_8hip_execINS_17iteration_mapping11StridedLoopILm0EEENS_3hip11IndexGlobalILNS_9named_dimE0ELi256ELi0EEENS8_40AvoidDeviceMaxThreadOccupancyConcretizerINS8_34FractionOffsetOccupancyConcretizerINS_8FractionImLm1ELm1EEELln1EEEEELb1EEENS_9Iterators16numeric_iteratorIllPlEEZN8rajaperf9algorithm10REDUCE_SUM17runHipVariantRAJAILm256ENSN_13gpu_algorithm19block_device_helperENSN_11gpu_mapping40global_loop_occupancy_grid_stride_helperEEEvNSN_9VariantIDEEUllE_lNS_4expt15ForallParamPackIJEEES7_SB_TnNSt9enable_ifIXaaaasr3std10is_base_ofINS5_15StridedLoopBaseET4_EE5valuesr3std10is_base_ofINS5_15UnsizedLoopBaseES12_EE5valuegtsrT5_10block_sizeLi0EEmE4typeELm256EEEvT1_T0_T2_T3_
	.globl	_ZN4RAJA6policy3hip4impl18forallp_hip_kernelINS1_8hip_execINS_17iteration_mapping11StridedLoopILm0EEENS_3hip11IndexGlobalILNS_9named_dimE0ELi256ELi0EEENS8_40AvoidDeviceMaxThreadOccupancyConcretizerINS8_34FractionOffsetOccupancyConcretizerINS_8FractionImLm1ELm1EEELln1EEEEELb1EEENS_9Iterators16numeric_iteratorIllPlEEZN8rajaperf9algorithm10REDUCE_SUM17runHipVariantRAJAILm256ENSN_13gpu_algorithm19block_device_helperENSN_11gpu_mapping40global_loop_occupancy_grid_stride_helperEEEvNSN_9VariantIDEEUllE_lNS_4expt15ForallParamPackIJEEES7_SB_TnNSt9enable_ifIXaaaasr3std10is_base_ofINS5_15StridedLoopBaseET4_EE5valuesr3std10is_base_ofINS5_15UnsizedLoopBaseES12_EE5valuegtsrT5_10block_sizeLi0EEmE4typeELm256EEEvT1_T0_T2_T3_
	.p2align	8
	.type	_ZN4RAJA6policy3hip4impl18forallp_hip_kernelINS1_8hip_execINS_17iteration_mapping11StridedLoopILm0EEENS_3hip11IndexGlobalILNS_9named_dimE0ELi256ELi0EEENS8_40AvoidDeviceMaxThreadOccupancyConcretizerINS8_34FractionOffsetOccupancyConcretizerINS_8FractionImLm1ELm1EEELln1EEEEELb1EEENS_9Iterators16numeric_iteratorIllPlEEZN8rajaperf9algorithm10REDUCE_SUM17runHipVariantRAJAILm256ENSN_13gpu_algorithm19block_device_helperENSN_11gpu_mapping40global_loop_occupancy_grid_stride_helperEEEvNSN_9VariantIDEEUllE_lNS_4expt15ForallParamPackIJEEES7_SB_TnNSt9enable_ifIXaaaasr3std10is_base_ofINS5_15StridedLoopBaseET4_EE5valuesr3std10is_base_ofINS5_15UnsizedLoopBaseES12_EE5valuegtsrT5_10block_sizeLi0EEmE4typeELm256EEEvT1_T0_T2_T3_,@function
_ZN4RAJA6policy3hip4impl18forallp_hip_kernelINS1_8hip_execINS_17iteration_mapping11StridedLoopILm0EEENS_3hip11IndexGlobalILNS_9named_dimE0ELi256ELi0EEENS8_40AvoidDeviceMaxThreadOccupancyConcretizerINS8_34FractionOffsetOccupancyConcretizerINS_8FractionImLm1ELm1EEELln1EEEEELb1EEENS_9Iterators16numeric_iteratorIllPlEEZN8rajaperf9algorithm10REDUCE_SUM17runHipVariantRAJAILm256ENSN_13gpu_algorithm19block_device_helperENSN_11gpu_mapping40global_loop_occupancy_grid_stride_helperEEEvNSN_9VariantIDEEUllE_lNS_4expt15ForallParamPackIJEEES7_SB_TnNSt9enable_ifIXaaaasr3std10is_base_ofINS5_15StridedLoopBaseET4_EE5valuesr3std10is_base_ofINS5_15UnsizedLoopBaseES12_EE5valuegtsrT5_10block_sizeLi0EEmE4typeELm256EEEvT1_T0_T2_T3_: ; @_ZN4RAJA6policy3hip4impl18forallp_hip_kernelINS1_8hip_execINS_17iteration_mapping11StridedLoopILm0EEENS_3hip11IndexGlobalILNS_9named_dimE0ELi256ELi0EEENS8_40AvoidDeviceMaxThreadOccupancyConcretizerINS8_34FractionOffsetOccupancyConcretizerINS_8FractionImLm1ELm1EEELln1EEEEELb1EEENS_9Iterators16numeric_iteratorIllPlEEZN8rajaperf9algorithm10REDUCE_SUM17runHipVariantRAJAILm256ENSN_13gpu_algorithm19block_device_helperENSN_11gpu_mapping40global_loop_occupancy_grid_stride_helperEEEvNSN_9VariantIDEEUllE_lNS_4expt15ForallParamPackIJEEES7_SB_TnNSt9enable_ifIXaaaasr3std10is_base_ofINS5_15StridedLoopBaseET4_EE5valuesr3std10is_base_ofINS5_15UnsizedLoopBaseES12_EE5valuegtsrT5_10block_sizeLi0EEmE4typeELm256EEEvT1_T0_T2_T3_
; %bb.0:
	s_load_dwordx2 s[12:13], s[4:5], 0x48
	s_load_dwordx4 s[16:19], s[4:5], 0x18
	s_load_dwordx2 s[10:11], s[4:5], 0x28
	s_mov_b32 s0, s7
	s_mov_b32 s7, 0
	s_lshl_b64 s[2:3], s[6:7], 8
	v_or_b32_e32 v5, s2, v0
	v_mov_b32_e32 v6, s3
	s_waitcnt lgkmcnt(0)
	v_cmp_gt_i64_e32 vcc, s[12:13], v[5:6]
	v_mov_b32_e32 v3, s16
	v_mov_b32_e32 v4, s17
	s_and_saveexec_b64 s[14:15], vcc
	s_cbranch_execz .LBB15_4
; %bb.1:
	s_load_dword s2, s[4:5], 0x58
	s_load_dwordx4 s[24:27], s[4:5], 0x38
	s_mov_b32 s3, s7
	s_lshl_b64 s[22:23], s[6:7], 11
	v_lshlrev_b32_e32 v3, 3, v0
	s_waitcnt lgkmcnt(0)
	s_lshl_b64 s[20:21], s[2:3], 8
	s_lshl_b64 s[26:27], s[26:27], 3
	s_add_u32 s1, s22, s26
	s_addc_u32 s7, s23, s27
	s_add_u32 s1, s24, s1
	s_addc_u32 s7, s25, s7
	v_mov_b32_e32 v4, s7
	v_add_co_u32_e32 v7, vcc, s1, v3
	v_addc_co_u32_e32 v8, vcc, 0, v4, vcc
	s_lshl_b64 s[24:25], s[2:3], 11
	v_mov_b32_e32 v3, s16
	s_mov_b64 s[22:23], 0
	v_mov_b32_e32 v4, s17
	v_mov_b32_e32 v9, s25
	;; [unrolled: 1-line block ×3, first 2 shown]
.LBB15_2:                               ; =>This Inner Loop Header: Depth=1
	global_load_dwordx2 v[11:12], v[7:8], off
	v_add_co_u32_e64 v5, s[2:3], s20, v5
	v_addc_co_u32_e64 v6, s[2:3], v6, v10, s[2:3]
	v_cmp_le_i64_e64 s[2:3], s[12:13], v[5:6]
	v_add_co_u32_e32 v7, vcc, s24, v7
	s_or_b64 s[22:23], s[2:3], s[22:23]
	v_addc_co_u32_e32 v8, vcc, v8, v9, vcc
	s_waitcnt vmcnt(0)
	v_add_f64 v[3:4], v[3:4], v[11:12]
	s_andn2_b64 exec, exec, s[22:23]
	s_cbranch_execnz .LBB15_2
; %bb.3:
	s_or_b64 exec, exec, s[22:23]
.LBB15_4:
	s_or_b64 exec, exec, s[14:15]
	s_load_dwordx4 s[12:15], s[4:5], 0x0
	s_waitcnt lgkmcnt(0)
	s_cmp_lg_u64 s[12:13], 0
	s_cbranch_scc0 .LBB15_6
.LBB15_5:
	s_endpgm
.LBB15_6:
	s_load_dwordx2 s[22:23], s[4:5], 0x58
	s_add_u32 s1, s4, 0x58
	v_mov_b32_e32 v5, 0
	s_addc_u32 s3, s5, 0
	global_load_dword v6, v5, s[4:5] offset:102
	s_waitcnt lgkmcnt(0)
	s_cmp_lt_u32 s6, s22
	s_cselect_b32 s2, 12, 18
	s_add_u32 s2, s1, s2
	s_addc_u32 s3, s3, 0
	global_load_ushort v5, v5, s[2:3]
	v_mbcnt_lo_u32_b32 v7, -1, 0
	s_waitcnt vmcnt(1)
	v_readfirstlane_b32 s1, v6
	s_lshr_b32 s2, s1, 16
	s_and_b32 s1, s1, 0xffff
	s_waitcnt vmcnt(0)
	v_readfirstlane_b32 s3, v5
	s_mul_i32 s1, s1, s3
	v_mul_lo_u32 v2, s1, v2
	s_mul_i32 s2, s1, s2
	s_ashr_i32 s3, s2, 31
	s_and_b32 s1, s2, 63
	v_mul_u32_u24_e32 v1, v1, v5
	s_cmp_lg_u32 s1, 0
	s_cselect_b64 s[12:13], -1, 0
	s_cmp_eq_u32 s1, 0
	v_add3_u32 v11, v1, v0, v2
	v_mbcnt_hi_u32_b32 v2, -1, v7
	s_cbranch_scc1 .LBB15_42
; %bb.7:
	v_and_b32_e32 v7, 64, v2
	v_xor_b32_e32 v5, 1, v11
	v_and_or_b32 v0, v5, 63, v7
	v_lshlrev_b32_e32 v1, 2, v0
	ds_bpermute_b32 v0, v1, v3
	ds_bpermute_b32 v1, v1, v4
	v_xor_b32_e32 v8, 2, v11
	v_and_or_b32 v6, v8, 63, v7
	v_cmp_gt_i32_e32 vcc, s2, v5
	v_lshlrev_b32_e32 v6, 2, v6
	s_waitcnt lgkmcnt(0)
	v_add_f64 v[0:1], v[3:4], v[0:1]
	v_xor_b32_e32 v9, 4, v11
	v_and_or_b32 v10, v9, 63, v7
	v_lshlrev_b32_e32 v10, 2, v10
	v_cndmask_b32_e32 v1, v4, v1, vcc
	v_cndmask_b32_e32 v0, v3, v0, vcc
	ds_bpermute_b32 v5, v6, v0
	ds_bpermute_b32 v6, v6, v1
	v_cmp_gt_i32_e32 vcc, s2, v8
	v_xor_b32_e32 v8, 8, v11
	s_waitcnt lgkmcnt(0)
	v_add_f64 v[5:6], v[0:1], v[5:6]
	v_cndmask_b32_e32 v1, v1, v6, vcc
	v_cndmask_b32_e32 v0, v0, v5, vcc
	ds_bpermute_b32 v5, v10, v0
	ds_bpermute_b32 v6, v10, v1
	v_and_or_b32 v10, v8, 63, v7
	v_cmp_gt_i32_e32 vcc, s2, v9
	v_lshlrev_b32_e32 v10, 2, v10
	v_xor_b32_e32 v9, 16, v11
	s_waitcnt lgkmcnt(0)
	v_add_f64 v[5:6], v[0:1], v[5:6]
	v_cndmask_b32_e32 v1, v1, v6, vcc
	v_cndmask_b32_e32 v0, v0, v5, vcc
	ds_bpermute_b32 v5, v10, v0
	ds_bpermute_b32 v6, v10, v1
	v_and_or_b32 v10, v9, 63, v7
	v_cmp_gt_i32_e32 vcc, s2, v8
	v_lshlrev_b32_e32 v10, 2, v10
	v_xor_b32_e32 v8, 32, v11
	s_waitcnt lgkmcnt(0)
	v_add_f64 v[5:6], v[0:1], v[5:6]
	v_and_or_b32 v7, v8, 63, v7
	v_lshlrev_b32_e32 v7, 2, v7
	v_cndmask_b32_e32 v1, v1, v6, vcc
	v_cndmask_b32_e32 v0, v0, v5, vcc
	ds_bpermute_b32 v5, v10, v0
	ds_bpermute_b32 v6, v10, v1
	v_cmp_gt_i32_e32 vcc, s2, v9
	s_waitcnt lgkmcnt(0)
	v_add_f64 v[5:6], v[0:1], v[5:6]
	v_cndmask_b32_e32 v1, v1, v6, vcc
	v_cndmask_b32_e32 v0, v0, v5, vcc
	ds_bpermute_b32 v5, v7, v0
	ds_bpermute_b32 v6, v7, v1
	v_cmp_gt_i32_e32 vcc, s2, v8
	s_waitcnt lgkmcnt(0)
	v_add_f64 v[5:6], v[0:1], v[5:6]
	v_cndmask_b32_e32 v1, v1, v6, vcc
	v_cndmask_b32_e32 v0, v0, v5, vcc
	s_cbranch_execnz .LBB15_9
.LBB15_8:
	v_and_b32_e32 v0, 64, v2
	v_add_u32_e32 v7, 64, v0
	v_xor_b32_e32 v0, 1, v2
	v_cmp_lt_i32_e32 vcc, v0, v7
	v_cndmask_b32_e32 v0, v2, v0, vcc
	v_lshlrev_b32_e32 v1, 2, v0
	ds_bpermute_b32 v0, v1, v3
	ds_bpermute_b32 v1, v1, v4
	v_xor_b32_e32 v5, 2, v2
	v_cmp_lt_i32_e32 vcc, v5, v7
	v_cndmask_b32_e32 v5, v2, v5, vcc
	v_lshlrev_b32_e32 v6, 2, v5
	s_waitcnt lgkmcnt(0)
	v_add_f64 v[0:1], v[3:4], v[0:1]
	ds_bpermute_b32 v5, v6, v0
	ds_bpermute_b32 v6, v6, v1
	s_waitcnt lgkmcnt(0)
	v_add_f64 v[0:1], v[0:1], v[5:6]
	v_xor_b32_e32 v5, 4, v2
	v_cmp_lt_i32_e32 vcc, v5, v7
	v_cndmask_b32_e32 v5, v2, v5, vcc
	v_lshlrev_b32_e32 v6, 2, v5
	ds_bpermute_b32 v5, v6, v0
	ds_bpermute_b32 v6, v6, v1
	s_waitcnt lgkmcnt(0)
	v_add_f64 v[0:1], v[0:1], v[5:6]
	v_xor_b32_e32 v5, 8, v2
	v_cmp_lt_i32_e32 vcc, v5, v7
	v_cndmask_b32_e32 v5, v2, v5, vcc
	v_lshlrev_b32_e32 v6, 2, v5
	;; [unrolled: 8-line block ×4, first 2 shown]
	ds_bpermute_b32 v5, v6, v0
	ds_bpermute_b32 v6, v6, v1
	s_waitcnt lgkmcnt(0)
	v_add_f64 v[0:1], v[0:1], v[5:6]
.LBB15_9:
	v_ashrrev_i32_e32 v12, 31, v11
	s_load_dword s1, s[4:5], 0x60
	v_lshrrev_b32_e32 v5, 26, v12
	v_add_u32_e32 v5, v11, v5
	v_ashrrev_i32_e32 v13, 6, v5
	v_and_b32_e32 v5, 0xffffffc0, v5
	v_sub_u32_e32 v5, v11, v5
	s_cmp_gt_i32 s2, 64
	s_cselect_b64 s[20:21], -1, 0
	s_cmpk_lt_i32 s2, 0x41
	v_ashrrev_i32_e32 v6, 31, v5
	s_cbranch_scc1 .LBB15_17
; %bb.10:
	v_cmp_eq_u32_e32 vcc, 0, v5
	s_and_saveexec_b64 s[4:5], vcc
; %bb.11:
	v_lshlrev_b32_e32 v7, 3, v13
	ds_write_b64 v7, v[0:1]
; %bb.12:
	s_or_b64 exec, exec, s[4:5]
	v_add_co_u32_e32 v7, vcc, 63, v11
	v_addc_co_u32_e32 v8, vcc, 0, v12, vcc
	s_mov_b64 s[4:5], 0x7f
	v_cmp_gt_u64_e32 vcc, s[4:5], v[7:8]
	s_waitcnt lgkmcnt(0)
	s_barrier
	s_and_saveexec_b64 s[4:5], vcc
	s_cbranch_execz .LBB15_16
; %bb.13:
	v_lshlrev_b64 v[0:1], 6, v[5:6]
	v_cmp_gt_i64_e32 vcc, s[2:3], v[0:1]
	v_mov_b32_e32 v0, s16
	v_mov_b32_e32 v1, s17
	s_and_saveexec_b64 s[24:25], vcc
; %bb.14:
	v_lshlrev_b32_e32 v0, 3, v5
	ds_read_b64 v[0:1], v0
; %bb.15:
	s_or_b64 exec, exec, s[24:25]
	v_and_b32_e32 v7, 64, v2
	v_add_u32_e32 v9, 64, v7
	v_xor_b32_e32 v7, 1, v2
	v_cmp_lt_i32_e32 vcc, v7, v9
	v_cndmask_b32_e32 v7, v2, v7, vcc
	v_lshlrev_b32_e32 v8, 2, v7
	s_waitcnt lgkmcnt(0)
	ds_bpermute_b32 v7, v8, v0
	ds_bpermute_b32 v8, v8, v1
	s_waitcnt lgkmcnt(0)
	v_add_f64 v[0:1], v[0:1], v[7:8]
	v_xor_b32_e32 v7, 2, v2
	v_cmp_lt_i32_e32 vcc, v7, v9
	v_cndmask_b32_e32 v7, v2, v7, vcc
	v_lshlrev_b32_e32 v8, 2, v7
	ds_bpermute_b32 v7, v8, v0
	ds_bpermute_b32 v8, v8, v1
	s_waitcnt lgkmcnt(0)
	v_add_f64 v[0:1], v[0:1], v[7:8]
	v_xor_b32_e32 v7, 4, v2
	v_cmp_lt_i32_e32 vcc, v7, v9
	v_cndmask_b32_e32 v7, v2, v7, vcc
	v_lshlrev_b32_e32 v8, 2, v7
	;; [unrolled: 8-line block ×3, first 2 shown]
	ds_bpermute_b32 v7, v8, v0
	ds_bpermute_b32 v8, v8, v1
	s_waitcnt lgkmcnt(0)
	v_add_f64 v[0:1], v[0:1], v[7:8]
.LBB15_16:
	s_or_b64 exec, exec, s[4:5]
	s_barrier
.LBB15_17:
	s_mul_i32 s0, s22, s0
	s_mul_i32 s4, s23, s22
	s_add_i32 s0, s0, s6
	s_mul_i32 s5, s4, s8
	s_add_i32 s0, s0, s5
	s_waitcnt lgkmcnt(0)
	s_mul_i32 s6, s1, s4
	s_ashr_i32 s1, s0, 31
	s_lshr_b32 s1, s1, 27
	s_add_i32 s8, s0, s1
	s_and_b32 s1, s8, 0xffffffe0
	s_sub_i32 s4, s0, s1
	s_ashr_i32 s0, s6, 31
	s_lshr_b32 s0, s0, 27
	s_add_i32 s0, s6, s0
	s_ashr_i32 s5, s0, 5
	s_andn2_b32 s0, s0, 31
	s_sub_i32 s0, s6, s0
	s_cmp_lt_i32 s4, s0
	s_cselect_b64 s[0:1], -1, 0
	s_cmp_lg_u64 s[0:1], 0
	s_addc_u32 s5, s5, 0
	s_cmp_gt_u32 s5, 1
	v_cmp_eq_u32_e64 s[0:1], 0, v11
	s_cbranch_scc0 .LBB15_38
; %bb.18:
	s_add_i32 s6, s6, 31
	s_ashr_i32 s7, s6, 31
	s_lshr_b32 s7, s7, 27
	s_add_i32 s6, s6, s7
	s_ashr_i32 s22, s6, 5
	s_mul_i32 s22, s22, s4
	s_and_saveexec_b64 s[6:7], s[0:1]
	s_cbranch_execz .LBB15_20
; %bb.19:
	s_ashr_i32 s9, s8, 5
	s_add_i32 s24, s22, s9
	s_ashr_i32 s25, s24, 31
	s_lshl_b32 s8, s4, 3
	s_lshl_b64 s[24:25], s[24:25], 3
	s_add_u32 s24, s10, s24
	s_addc_u32 s25, s11, s25
	s_ashr_i32 s9, s8, 31
	s_lshl_b64 s[8:9], s[8:9], 2
	v_mov_b32_e32 v7, s24
	s_add_u32 s8, s18, s8
	v_mov_b32_e32 v8, s25
	s_addc_u32 s9, s19, s9
	s_add_i32 s18, s5, -1
	flat_store_dwordx2 v[7:8], v[0:1]
	v_mov_b32_e32 v7, 0
	v_mov_b32_e32 v8, s18
	s_waitcnt vmcnt(0) lgkmcnt(0)
	global_atomic_inc v8, v7, v8, s[8:9] glc
	s_waitcnt vmcnt(0)
	v_cmp_eq_u32_e32 vcc, s18, v8
	v_cndmask_b32_e64 v8, 0, 1, vcc
	ds_write_b8 v7, v8 offset:128
.LBB15_20:
	s_or_b64 exec, exec, s[6:7]
	v_mov_b32_e32 v7, 0
	s_waitcnt lgkmcnt(0)
	s_barrier
	ds_read_u8 v7, v7 offset:128
	s_mov_b64 s[6:7], 0
	s_waitcnt lgkmcnt(0)
	v_and_b32_e32 v7, 1, v7
	v_cmp_eq_u32_e32 vcc, 0, v7
	v_mov_b32_e32 v8, v4
	v_mov_b32_e32 v7, v3
	s_cbranch_vccnz .LBB15_37
; %bb.21:
	v_mov_b32_e32 v7, s16
	v_cmp_gt_u32_e32 vcc, s5, v11
	v_mov_b32_e32 v8, s17
	s_and_saveexec_b64 s[6:7], vcc
	s_cbranch_execz .LBB15_25
; %bb.22:
	v_mov_b32_e32 v7, s16
	s_mov_b64 s[8:9], 0
	v_mov_b32_e32 v8, s17
	v_mov_b32_e32 v10, 0
	;; [unrolled: 1-line block ×4, first 2 shown]
.LBB15_23:                              ; =>This Inner Loop Header: Depth=1
	v_add_u32_e32 v9, s22, v15
	v_lshlrev_b64 v[16:17], 3, v[9:10]
	v_add_u32_e32 v15, s2, v15
	v_add_co_u32_e32 v16, vcc, s10, v16
	v_addc_co_u32_e32 v17, vcc, v14, v17, vcc
	flat_load_dwordx2 v[16:17], v[16:17] glc
	v_cmp_le_u32_e32 vcc, s5, v15
	s_or_b64 s[8:9], vcc, s[8:9]
	s_waitcnt vmcnt(0) lgkmcnt(0)
	v_add_f64 v[7:8], v[7:8], v[16:17]
	s_andn2_b64 exec, exec, s[8:9]
	s_cbranch_execnz .LBB15_23
; %bb.24:
	s_or_b64 exec, exec, s[8:9]
.LBB15_25:
	s_or_b64 exec, exec, s[6:7]
	s_andn2_b64 vcc, exec, s[12:13]
	s_cbranch_vccnz .LBB15_43
; %bb.26:
	v_and_b32_e32 v16, 64, v2
	v_xor_b32_e32 v14, 1, v11
	v_and_or_b32 v9, v14, 63, v16
	v_lshlrev_b32_e32 v10, 2, v9
	ds_bpermute_b32 v9, v10, v7
	ds_bpermute_b32 v10, v10, v8
	v_xor_b32_e32 v17, 2, v11
	v_and_or_b32 v15, v17, 63, v16
	v_cmp_gt_i32_e32 vcc, s2, v14
	v_lshlrev_b32_e32 v15, 2, v15
	s_waitcnt lgkmcnt(0)
	v_add_f64 v[9:10], v[7:8], v[9:10]
	v_xor_b32_e32 v18, 4, v11
	v_and_or_b32 v19, v18, 63, v16
	v_lshlrev_b32_e32 v19, 2, v19
	v_cndmask_b32_e32 v10, v8, v10, vcc
	v_cndmask_b32_e32 v9, v7, v9, vcc
	ds_bpermute_b32 v14, v15, v9
	ds_bpermute_b32 v15, v15, v10
	v_cmp_gt_i32_e32 vcc, s2, v17
	v_xor_b32_e32 v17, 8, v11
	s_waitcnt lgkmcnt(0)
	v_add_f64 v[14:15], v[9:10], v[14:15]
	v_cndmask_b32_e32 v10, v10, v15, vcc
	v_cndmask_b32_e32 v9, v9, v14, vcc
	ds_bpermute_b32 v14, v19, v9
	ds_bpermute_b32 v15, v19, v10
	v_and_or_b32 v19, v17, 63, v16
	v_cmp_gt_i32_e32 vcc, s2, v18
	v_lshlrev_b32_e32 v19, 2, v19
	v_xor_b32_e32 v18, 16, v11
	s_waitcnt lgkmcnt(0)
	v_add_f64 v[14:15], v[9:10], v[14:15]
	v_cndmask_b32_e32 v10, v10, v15, vcc
	v_cndmask_b32_e32 v9, v9, v14, vcc
	ds_bpermute_b32 v14, v19, v9
	ds_bpermute_b32 v15, v19, v10
	v_and_or_b32 v19, v18, 63, v16
	v_cmp_gt_i32_e32 vcc, s2, v17
	v_lshlrev_b32_e32 v19, 2, v19
	v_xor_b32_e32 v17, 32, v11
	s_waitcnt lgkmcnt(0)
	v_add_f64 v[14:15], v[9:10], v[14:15]
	v_and_or_b32 v16, v17, 63, v16
	v_lshlrev_b32_e32 v16, 2, v16
	v_cndmask_b32_e32 v10, v10, v15, vcc
	v_cndmask_b32_e32 v9, v9, v14, vcc
	ds_bpermute_b32 v14, v19, v9
	ds_bpermute_b32 v15, v19, v10
	v_cmp_gt_i32_e32 vcc, s2, v18
	s_waitcnt lgkmcnt(0)
	v_add_f64 v[14:15], v[9:10], v[14:15]
	v_cndmask_b32_e32 v10, v10, v15, vcc
	v_cndmask_b32_e32 v9, v9, v14, vcc
	ds_bpermute_b32 v14, v16, v9
	ds_bpermute_b32 v15, v16, v10
	v_cmp_gt_i32_e32 vcc, s2, v17
	s_waitcnt lgkmcnt(0)
	v_add_f64 v[14:15], v[9:10], v[14:15]
	v_cndmask_b32_e32 v10, v10, v15, vcc
	v_cndmask_b32_e32 v9, v9, v14, vcc
	s_cbranch_execnz .LBB15_28
.LBB15_27:
	v_and_b32_e32 v9, 64, v2
	v_add_u32_e32 v14, 64, v9
	v_xor_b32_e32 v9, 1, v2
	v_cmp_lt_i32_e32 vcc, v9, v14
	v_cndmask_b32_e32 v9, v2, v9, vcc
	v_lshlrev_b32_e32 v10, 2, v9
	ds_bpermute_b32 v9, v10, v7
	ds_bpermute_b32 v10, v10, v8
	s_waitcnt lgkmcnt(0)
	v_add_f64 v[7:8], v[7:8], v[9:10]
	v_xor_b32_e32 v9, 2, v2
	v_cmp_lt_i32_e32 vcc, v9, v14
	v_cndmask_b32_e32 v9, v2, v9, vcc
	v_lshlrev_b32_e32 v10, 2, v9
	ds_bpermute_b32 v9, v10, v7
	ds_bpermute_b32 v10, v10, v8
	s_waitcnt lgkmcnt(0)
	v_add_f64 v[7:8], v[7:8], v[9:10]
	;; [unrolled: 8-line block ×6, first 2 shown]
.LBB15_28:
	s_andn2_b64 vcc, exec, s[20:21]
	s_cbranch_vccnz .LBB15_36
; %bb.29:
	v_cmp_eq_u32_e32 vcc, 0, v5
	s_and_saveexec_b64 s[6:7], vcc
; %bb.30:
	v_lshlrev_b32_e32 v7, 3, v13
	ds_write_b64 v7, v[9:10]
; %bb.31:
	s_or_b64 exec, exec, s[6:7]
	v_add_co_u32_e32 v7, vcc, 63, v11
	v_addc_co_u32_e32 v8, vcc, 0, v12, vcc
	s_mov_b64 s[6:7], 0x7f
	v_cmp_gt_u64_e32 vcc, s[6:7], v[7:8]
	s_waitcnt lgkmcnt(0)
	s_barrier
	s_and_saveexec_b64 s[6:7], vcc
	s_cbranch_execz .LBB15_35
; %bb.32:
	v_lshlrev_b64 v[6:7], 6, v[5:6]
	v_cmp_gt_i64_e32 vcc, s[2:3], v[6:7]
	v_mov_b32_e32 v6, s16
	v_mov_b32_e32 v7, s17
	s_and_saveexec_b64 s[2:3], vcc
; %bb.33:
	v_lshlrev_b32_e32 v5, 3, v5
	ds_read_b64 v[6:7], v5
; %bb.34:
	s_or_b64 exec, exec, s[2:3]
	v_and_b32_e32 v5, 64, v2
	v_add_u32_e32 v10, 64, v5
	v_xor_b32_e32 v5, 1, v2
	v_cmp_lt_i32_e32 vcc, v5, v10
	v_cndmask_b32_e32 v5, v2, v5, vcc
	v_lshlrev_b32_e32 v5, 2, v5
	s_waitcnt lgkmcnt(0)
	ds_bpermute_b32 v8, v5, v6
	ds_bpermute_b32 v9, v5, v7
	s_waitcnt lgkmcnt(0)
	v_add_f64 v[5:6], v[6:7], v[8:9]
	v_xor_b32_e32 v7, 2, v2
	v_cmp_lt_i32_e32 vcc, v7, v10
	v_cndmask_b32_e32 v7, v2, v7, vcc
	v_lshlrev_b32_e32 v8, 2, v7
	ds_bpermute_b32 v7, v8, v5
	ds_bpermute_b32 v8, v8, v6
	s_waitcnt lgkmcnt(0)
	v_add_f64 v[5:6], v[5:6], v[7:8]
	v_xor_b32_e32 v7, 4, v2
	v_cmp_lt_i32_e32 vcc, v7, v10
	v_cndmask_b32_e32 v7, v2, v7, vcc
	v_lshlrev_b32_e32 v8, 2, v7
	ds_bpermute_b32 v7, v8, v5
	ds_bpermute_b32 v8, v8, v6
	s_waitcnt lgkmcnt(0)
	v_add_f64 v[5:6], v[5:6], v[7:8]
	v_xor_b32_e32 v7, 8, v2
	v_cmp_lt_i32_e32 vcc, v7, v10
	v_cndmask_b32_e32 v2, v2, v7, vcc
	v_lshlrev_b32_e32 v2, 2, v2
	ds_bpermute_b32 v7, v2, v5
	ds_bpermute_b32 v8, v2, v6
	s_waitcnt lgkmcnt(0)
	v_add_f64 v[9:10], v[5:6], v[7:8]
.LBB15_35:
	s_or_b64 exec, exec, s[6:7]
	s_barrier
.LBB15_36:
	v_mov_b32_e32 v2, 0
	ds_read_u8 v2, v2 offset:128
	v_cndmask_b32_e64 v8, v4, v10, s[0:1]
	v_cndmask_b32_e64 v7, v3, v9, s[0:1]
	s_waitcnt lgkmcnt(0)
	v_and_b32_e32 v2, 1, v2
	v_cmp_eq_u32_e64 s[6:7], 1, v2
.LBB15_37:
	s_and_b64 s[2:3], s[0:1], s[6:7]
	s_branch .LBB15_40
.LBB15_38:
                                        ; implicit-def: $sgpr2_sgpr3
                                        ; implicit-def: $vgpr7_vgpr8
	s_cbranch_execz .LBB15_40
; %bb.39:
	v_cndmask_b32_e64 v8, v4, v1, s[0:1]
	v_cndmask_b32_e64 v7, v3, v0, s[0:1]
	s_andn2_b64 s[2:3], s[2:3], exec
	s_and_b64 s[0:1], s[0:1], exec
	s_or_b64 s[2:3], s[2:3], s[0:1]
.LBB15_40:
	s_and_saveexec_b64 s[0:1], s[2:3]
	s_cbranch_execz .LBB15_5
; %bb.41:
	s_ashr_i32 s5, s4, 31
	s_lshl_b64 s[0:1], s[4:5], 3
	s_add_u32 s0, s14, s0
	s_addc_u32 s1, s15, s1
	v_mov_b32_e32 v0, s0
	v_mov_b32_e32 v1, s1
	flat_store_dwordx2 v[0:1], v[7:8]
	s_endpgm
.LBB15_42:
                                        ; implicit-def: $vgpr0_vgpr1
	s_branch .LBB15_8
.LBB15_43:
                                        ; implicit-def: $vgpr9_vgpr10
	s_branch .LBB15_27
	.section	.rodata,"a",@progbits
	.p2align	6, 0x0
	.amdhsa_kernel _ZN4RAJA6policy3hip4impl18forallp_hip_kernelINS1_8hip_execINS_17iteration_mapping11StridedLoopILm0EEENS_3hip11IndexGlobalILNS_9named_dimE0ELi256ELi0EEENS8_40AvoidDeviceMaxThreadOccupancyConcretizerINS8_34FractionOffsetOccupancyConcretizerINS_8FractionImLm1ELm1EEELln1EEEEELb1EEENS_9Iterators16numeric_iteratorIllPlEEZN8rajaperf9algorithm10REDUCE_SUM17runHipVariantRAJAILm256ENSN_13gpu_algorithm19block_device_helperENSN_11gpu_mapping40global_loop_occupancy_grid_stride_helperEEEvNSN_9VariantIDEEUllE_lNS_4expt15ForallParamPackIJEEES7_SB_TnNSt9enable_ifIXaaaasr3std10is_base_ofINS5_15StridedLoopBaseET4_EE5valuesr3std10is_base_ofINS5_15UnsizedLoopBaseES12_EE5valuegtsrT5_10block_sizeLi0EEmE4typeELm256EEEvT1_T0_T2_T3_
		.amdhsa_group_segment_fixed_size 129
		.amdhsa_private_segment_fixed_size 0
		.amdhsa_kernarg_size 344
		.amdhsa_user_sgpr_count 6
		.amdhsa_user_sgpr_private_segment_buffer 1
		.amdhsa_user_sgpr_dispatch_ptr 0
		.amdhsa_user_sgpr_queue_ptr 0
		.amdhsa_user_sgpr_kernarg_segment_ptr 1
		.amdhsa_user_sgpr_dispatch_id 0
		.amdhsa_user_sgpr_flat_scratch_init 0
		.amdhsa_user_sgpr_private_segment_size 0
		.amdhsa_uses_dynamic_stack 0
		.amdhsa_system_sgpr_private_segment_wavefront_offset 0
		.amdhsa_system_sgpr_workgroup_id_x 1
		.amdhsa_system_sgpr_workgroup_id_y 1
		.amdhsa_system_sgpr_workgroup_id_z 1
		.amdhsa_system_sgpr_workgroup_info 0
		.amdhsa_system_vgpr_workitem_id 2
		.amdhsa_next_free_vgpr 20
		.amdhsa_next_free_sgpr 28
		.amdhsa_reserve_vcc 1
		.amdhsa_reserve_flat_scratch 0
		.amdhsa_float_round_mode_32 0
		.amdhsa_float_round_mode_16_64 0
		.amdhsa_float_denorm_mode_32 3
		.amdhsa_float_denorm_mode_16_64 3
		.amdhsa_dx10_clamp 1
		.amdhsa_ieee_mode 1
		.amdhsa_fp16_overflow 0
		.amdhsa_exception_fp_ieee_invalid_op 0
		.amdhsa_exception_fp_denorm_src 0
		.amdhsa_exception_fp_ieee_div_zero 0
		.amdhsa_exception_fp_ieee_overflow 0
		.amdhsa_exception_fp_ieee_underflow 0
		.amdhsa_exception_fp_ieee_inexact 0
		.amdhsa_exception_int_div_zero 0
	.end_amdhsa_kernel
	.section	.text._ZN4RAJA6policy3hip4impl18forallp_hip_kernelINS1_8hip_execINS_17iteration_mapping11StridedLoopILm0EEENS_3hip11IndexGlobalILNS_9named_dimE0ELi256ELi0EEENS8_40AvoidDeviceMaxThreadOccupancyConcretizerINS8_34FractionOffsetOccupancyConcretizerINS_8FractionImLm1ELm1EEELln1EEEEELb1EEENS_9Iterators16numeric_iteratorIllPlEEZN8rajaperf9algorithm10REDUCE_SUM17runHipVariantRAJAILm256ENSN_13gpu_algorithm19block_device_helperENSN_11gpu_mapping40global_loop_occupancy_grid_stride_helperEEEvNSN_9VariantIDEEUllE_lNS_4expt15ForallParamPackIJEEES7_SB_TnNSt9enable_ifIXaaaasr3std10is_base_ofINS5_15StridedLoopBaseET4_EE5valuesr3std10is_base_ofINS5_15UnsizedLoopBaseES12_EE5valuegtsrT5_10block_sizeLi0EEmE4typeELm256EEEvT1_T0_T2_T3_,"axG",@progbits,_ZN4RAJA6policy3hip4impl18forallp_hip_kernelINS1_8hip_execINS_17iteration_mapping11StridedLoopILm0EEENS_3hip11IndexGlobalILNS_9named_dimE0ELi256ELi0EEENS8_40AvoidDeviceMaxThreadOccupancyConcretizerINS8_34FractionOffsetOccupancyConcretizerINS_8FractionImLm1ELm1EEELln1EEEEELb1EEENS_9Iterators16numeric_iteratorIllPlEEZN8rajaperf9algorithm10REDUCE_SUM17runHipVariantRAJAILm256ENSN_13gpu_algorithm19block_device_helperENSN_11gpu_mapping40global_loop_occupancy_grid_stride_helperEEEvNSN_9VariantIDEEUllE_lNS_4expt15ForallParamPackIJEEES7_SB_TnNSt9enable_ifIXaaaasr3std10is_base_ofINS5_15StridedLoopBaseET4_EE5valuesr3std10is_base_ofINS5_15UnsizedLoopBaseES12_EE5valuegtsrT5_10block_sizeLi0EEmE4typeELm256EEEvT1_T0_T2_T3_,comdat
.Lfunc_end15:
	.size	_ZN4RAJA6policy3hip4impl18forallp_hip_kernelINS1_8hip_execINS_17iteration_mapping11StridedLoopILm0EEENS_3hip11IndexGlobalILNS_9named_dimE0ELi256ELi0EEENS8_40AvoidDeviceMaxThreadOccupancyConcretizerINS8_34FractionOffsetOccupancyConcretizerINS_8FractionImLm1ELm1EEELln1EEEEELb1EEENS_9Iterators16numeric_iteratorIllPlEEZN8rajaperf9algorithm10REDUCE_SUM17runHipVariantRAJAILm256ENSN_13gpu_algorithm19block_device_helperENSN_11gpu_mapping40global_loop_occupancy_grid_stride_helperEEEvNSN_9VariantIDEEUllE_lNS_4expt15ForallParamPackIJEEES7_SB_TnNSt9enable_ifIXaaaasr3std10is_base_ofINS5_15StridedLoopBaseET4_EE5valuesr3std10is_base_ofINS5_15UnsizedLoopBaseES12_EE5valuegtsrT5_10block_sizeLi0EEmE4typeELm256EEEvT1_T0_T2_T3_, .Lfunc_end15-_ZN4RAJA6policy3hip4impl18forallp_hip_kernelINS1_8hip_execINS_17iteration_mapping11StridedLoopILm0EEENS_3hip11IndexGlobalILNS_9named_dimE0ELi256ELi0EEENS8_40AvoidDeviceMaxThreadOccupancyConcretizerINS8_34FractionOffsetOccupancyConcretizerINS_8FractionImLm1ELm1EEELln1EEEEELb1EEENS_9Iterators16numeric_iteratorIllPlEEZN8rajaperf9algorithm10REDUCE_SUM17runHipVariantRAJAILm256ENSN_13gpu_algorithm19block_device_helperENSN_11gpu_mapping40global_loop_occupancy_grid_stride_helperEEEvNSN_9VariantIDEEUllE_lNS_4expt15ForallParamPackIJEEES7_SB_TnNSt9enable_ifIXaaaasr3std10is_base_ofINS5_15StridedLoopBaseET4_EE5valuesr3std10is_base_ofINS5_15UnsizedLoopBaseES12_EE5valuegtsrT5_10block_sizeLi0EEmE4typeELm256EEEvT1_T0_T2_T3_
                                        ; -- End function
	.set _ZN4RAJA6policy3hip4impl18forallp_hip_kernelINS1_8hip_execINS_17iteration_mapping11StridedLoopILm0EEENS_3hip11IndexGlobalILNS_9named_dimE0ELi256ELi0EEENS8_40AvoidDeviceMaxThreadOccupancyConcretizerINS8_34FractionOffsetOccupancyConcretizerINS_8FractionImLm1ELm1EEELln1EEEEELb1EEENS_9Iterators16numeric_iteratorIllPlEEZN8rajaperf9algorithm10REDUCE_SUM17runHipVariantRAJAILm256ENSN_13gpu_algorithm19block_device_helperENSN_11gpu_mapping40global_loop_occupancy_grid_stride_helperEEEvNSN_9VariantIDEEUllE_lNS_4expt15ForallParamPackIJEEES7_SB_TnNSt9enable_ifIXaaaasr3std10is_base_ofINS5_15StridedLoopBaseET4_EE5valuesr3std10is_base_ofINS5_15UnsizedLoopBaseES12_EE5valuegtsrT5_10block_sizeLi0EEmE4typeELm256EEEvT1_T0_T2_T3_.num_vgpr, 20
	.set _ZN4RAJA6policy3hip4impl18forallp_hip_kernelINS1_8hip_execINS_17iteration_mapping11StridedLoopILm0EEENS_3hip11IndexGlobalILNS_9named_dimE0ELi256ELi0EEENS8_40AvoidDeviceMaxThreadOccupancyConcretizerINS8_34FractionOffsetOccupancyConcretizerINS_8FractionImLm1ELm1EEELln1EEEEELb1EEENS_9Iterators16numeric_iteratorIllPlEEZN8rajaperf9algorithm10REDUCE_SUM17runHipVariantRAJAILm256ENSN_13gpu_algorithm19block_device_helperENSN_11gpu_mapping40global_loop_occupancy_grid_stride_helperEEEvNSN_9VariantIDEEUllE_lNS_4expt15ForallParamPackIJEEES7_SB_TnNSt9enable_ifIXaaaasr3std10is_base_ofINS5_15StridedLoopBaseET4_EE5valuesr3std10is_base_ofINS5_15UnsizedLoopBaseES12_EE5valuegtsrT5_10block_sizeLi0EEmE4typeELm256EEEvT1_T0_T2_T3_.num_agpr, 0
	.set _ZN4RAJA6policy3hip4impl18forallp_hip_kernelINS1_8hip_execINS_17iteration_mapping11StridedLoopILm0EEENS_3hip11IndexGlobalILNS_9named_dimE0ELi256ELi0EEENS8_40AvoidDeviceMaxThreadOccupancyConcretizerINS8_34FractionOffsetOccupancyConcretizerINS_8FractionImLm1ELm1EEELln1EEEEELb1EEENS_9Iterators16numeric_iteratorIllPlEEZN8rajaperf9algorithm10REDUCE_SUM17runHipVariantRAJAILm256ENSN_13gpu_algorithm19block_device_helperENSN_11gpu_mapping40global_loop_occupancy_grid_stride_helperEEEvNSN_9VariantIDEEUllE_lNS_4expt15ForallParamPackIJEEES7_SB_TnNSt9enable_ifIXaaaasr3std10is_base_ofINS5_15StridedLoopBaseET4_EE5valuesr3std10is_base_ofINS5_15UnsizedLoopBaseES12_EE5valuegtsrT5_10block_sizeLi0EEmE4typeELm256EEEvT1_T0_T2_T3_.numbered_sgpr, 28
	.set _ZN4RAJA6policy3hip4impl18forallp_hip_kernelINS1_8hip_execINS_17iteration_mapping11StridedLoopILm0EEENS_3hip11IndexGlobalILNS_9named_dimE0ELi256ELi0EEENS8_40AvoidDeviceMaxThreadOccupancyConcretizerINS8_34FractionOffsetOccupancyConcretizerINS_8FractionImLm1ELm1EEELln1EEEEELb1EEENS_9Iterators16numeric_iteratorIllPlEEZN8rajaperf9algorithm10REDUCE_SUM17runHipVariantRAJAILm256ENSN_13gpu_algorithm19block_device_helperENSN_11gpu_mapping40global_loop_occupancy_grid_stride_helperEEEvNSN_9VariantIDEEUllE_lNS_4expt15ForallParamPackIJEEES7_SB_TnNSt9enable_ifIXaaaasr3std10is_base_ofINS5_15StridedLoopBaseET4_EE5valuesr3std10is_base_ofINS5_15UnsizedLoopBaseES12_EE5valuegtsrT5_10block_sizeLi0EEmE4typeELm256EEEvT1_T0_T2_T3_.num_named_barrier, 0
	.set _ZN4RAJA6policy3hip4impl18forallp_hip_kernelINS1_8hip_execINS_17iteration_mapping11StridedLoopILm0EEENS_3hip11IndexGlobalILNS_9named_dimE0ELi256ELi0EEENS8_40AvoidDeviceMaxThreadOccupancyConcretizerINS8_34FractionOffsetOccupancyConcretizerINS_8FractionImLm1ELm1EEELln1EEEEELb1EEENS_9Iterators16numeric_iteratorIllPlEEZN8rajaperf9algorithm10REDUCE_SUM17runHipVariantRAJAILm256ENSN_13gpu_algorithm19block_device_helperENSN_11gpu_mapping40global_loop_occupancy_grid_stride_helperEEEvNSN_9VariantIDEEUllE_lNS_4expt15ForallParamPackIJEEES7_SB_TnNSt9enable_ifIXaaaasr3std10is_base_ofINS5_15StridedLoopBaseET4_EE5valuesr3std10is_base_ofINS5_15UnsizedLoopBaseES12_EE5valuegtsrT5_10block_sizeLi0EEmE4typeELm256EEEvT1_T0_T2_T3_.private_seg_size, 0
	.set _ZN4RAJA6policy3hip4impl18forallp_hip_kernelINS1_8hip_execINS_17iteration_mapping11StridedLoopILm0EEENS_3hip11IndexGlobalILNS_9named_dimE0ELi256ELi0EEENS8_40AvoidDeviceMaxThreadOccupancyConcretizerINS8_34FractionOffsetOccupancyConcretizerINS_8FractionImLm1ELm1EEELln1EEEEELb1EEENS_9Iterators16numeric_iteratorIllPlEEZN8rajaperf9algorithm10REDUCE_SUM17runHipVariantRAJAILm256ENSN_13gpu_algorithm19block_device_helperENSN_11gpu_mapping40global_loop_occupancy_grid_stride_helperEEEvNSN_9VariantIDEEUllE_lNS_4expt15ForallParamPackIJEEES7_SB_TnNSt9enable_ifIXaaaasr3std10is_base_ofINS5_15StridedLoopBaseET4_EE5valuesr3std10is_base_ofINS5_15UnsizedLoopBaseES12_EE5valuegtsrT5_10block_sizeLi0EEmE4typeELm256EEEvT1_T0_T2_T3_.uses_vcc, 1
	.set _ZN4RAJA6policy3hip4impl18forallp_hip_kernelINS1_8hip_execINS_17iteration_mapping11StridedLoopILm0EEENS_3hip11IndexGlobalILNS_9named_dimE0ELi256ELi0EEENS8_40AvoidDeviceMaxThreadOccupancyConcretizerINS8_34FractionOffsetOccupancyConcretizerINS_8FractionImLm1ELm1EEELln1EEEEELb1EEENS_9Iterators16numeric_iteratorIllPlEEZN8rajaperf9algorithm10REDUCE_SUM17runHipVariantRAJAILm256ENSN_13gpu_algorithm19block_device_helperENSN_11gpu_mapping40global_loop_occupancy_grid_stride_helperEEEvNSN_9VariantIDEEUllE_lNS_4expt15ForallParamPackIJEEES7_SB_TnNSt9enable_ifIXaaaasr3std10is_base_ofINS5_15StridedLoopBaseET4_EE5valuesr3std10is_base_ofINS5_15UnsizedLoopBaseES12_EE5valuegtsrT5_10block_sizeLi0EEmE4typeELm256EEEvT1_T0_T2_T3_.uses_flat_scratch, 0
	.set _ZN4RAJA6policy3hip4impl18forallp_hip_kernelINS1_8hip_execINS_17iteration_mapping11StridedLoopILm0EEENS_3hip11IndexGlobalILNS_9named_dimE0ELi256ELi0EEENS8_40AvoidDeviceMaxThreadOccupancyConcretizerINS8_34FractionOffsetOccupancyConcretizerINS_8FractionImLm1ELm1EEELln1EEEEELb1EEENS_9Iterators16numeric_iteratorIllPlEEZN8rajaperf9algorithm10REDUCE_SUM17runHipVariantRAJAILm256ENSN_13gpu_algorithm19block_device_helperENSN_11gpu_mapping40global_loop_occupancy_grid_stride_helperEEEvNSN_9VariantIDEEUllE_lNS_4expt15ForallParamPackIJEEES7_SB_TnNSt9enable_ifIXaaaasr3std10is_base_ofINS5_15StridedLoopBaseET4_EE5valuesr3std10is_base_ofINS5_15UnsizedLoopBaseES12_EE5valuegtsrT5_10block_sizeLi0EEmE4typeELm256EEEvT1_T0_T2_T3_.has_dyn_sized_stack, 0
	.set _ZN4RAJA6policy3hip4impl18forallp_hip_kernelINS1_8hip_execINS_17iteration_mapping11StridedLoopILm0EEENS_3hip11IndexGlobalILNS_9named_dimE0ELi256ELi0EEENS8_40AvoidDeviceMaxThreadOccupancyConcretizerINS8_34FractionOffsetOccupancyConcretizerINS_8FractionImLm1ELm1EEELln1EEEEELb1EEENS_9Iterators16numeric_iteratorIllPlEEZN8rajaperf9algorithm10REDUCE_SUM17runHipVariantRAJAILm256ENSN_13gpu_algorithm19block_device_helperENSN_11gpu_mapping40global_loop_occupancy_grid_stride_helperEEEvNSN_9VariantIDEEUllE_lNS_4expt15ForallParamPackIJEEES7_SB_TnNSt9enable_ifIXaaaasr3std10is_base_ofINS5_15StridedLoopBaseET4_EE5valuesr3std10is_base_ofINS5_15UnsizedLoopBaseES12_EE5valuegtsrT5_10block_sizeLi0EEmE4typeELm256EEEvT1_T0_T2_T3_.has_recursion, 0
	.set _ZN4RAJA6policy3hip4impl18forallp_hip_kernelINS1_8hip_execINS_17iteration_mapping11StridedLoopILm0EEENS_3hip11IndexGlobalILNS_9named_dimE0ELi256ELi0EEENS8_40AvoidDeviceMaxThreadOccupancyConcretizerINS8_34FractionOffsetOccupancyConcretizerINS_8FractionImLm1ELm1EEELln1EEEEELb1EEENS_9Iterators16numeric_iteratorIllPlEEZN8rajaperf9algorithm10REDUCE_SUM17runHipVariantRAJAILm256ENSN_13gpu_algorithm19block_device_helperENSN_11gpu_mapping40global_loop_occupancy_grid_stride_helperEEEvNSN_9VariantIDEEUllE_lNS_4expt15ForallParamPackIJEEES7_SB_TnNSt9enable_ifIXaaaasr3std10is_base_ofINS5_15StridedLoopBaseET4_EE5valuesr3std10is_base_ofINS5_15UnsizedLoopBaseES12_EE5valuegtsrT5_10block_sizeLi0EEmE4typeELm256EEEvT1_T0_T2_T3_.has_indirect_call, 0
	.section	.AMDGPU.csdata,"",@progbits
; Kernel info:
; codeLenInByte = 2856
; TotalNumSgprs: 32
; NumVgprs: 20
; ScratchSize: 0
; MemoryBound: 0
; FloatMode: 240
; IeeeMode: 1
; LDSByteSize: 129 bytes/workgroup (compile time only)
; SGPRBlocks: 3
; VGPRBlocks: 4
; NumSGPRsForWavesPerEU: 32
; NumVGPRsForWavesPerEU: 20
; Occupancy: 10
; WaveLimiterHint : 0
; COMPUTE_PGM_RSRC2:SCRATCH_EN: 0
; COMPUTE_PGM_RSRC2:USER_SGPR: 6
; COMPUTE_PGM_RSRC2:TRAP_HANDLER: 0
; COMPUTE_PGM_RSRC2:TGID_X_EN: 1
; COMPUTE_PGM_RSRC2:TGID_Y_EN: 1
; COMPUTE_PGM_RSRC2:TGID_Z_EN: 1
; COMPUTE_PGM_RSRC2:TIDIG_COMP_CNT: 2
	.section	.text._ZN4RAJA6policy3hip4impl18forallp_hip_kernelINS1_8hip_execINS_17iteration_mapping11StridedLoopILm0EEENS_3hip11IndexGlobalILNS_9named_dimE0ELi256ELi0EEENS8_40AvoidDeviceMaxThreadOccupancyConcretizerINS8_34FractionOffsetOccupancyConcretizerINS_8FractionImLm1ELm1EEELln1EEEEELb1EEENS_9Iterators16numeric_iteratorIllPlEEZN8rajaperf9algorithm10REDUCE_SUM26runHipVariantRAJANewReduceILm256ENSN_11gpu_mapping40global_loop_occupancy_grid_stride_helperEEEvNSN_9VariantIDEEUllRNS_4expt5ValOpIdNS_9operators4plusEEEE_lNSU_15ForallParamPackIJNSU_6detail7ReducerINSX_IdddEEdSY_EEEEES7_SB_TnNSt9enable_ifIXaaaasr3std10is_base_ofINS5_15StridedLoopBaseET4_EE5valuesr3std10is_base_ofINS5_15UnsizedLoopBaseES19_EE5valuegtsrT5_10block_sizeLi0EEmE4typeELm256EEEvT1_T0_T2_T3_,"axG",@progbits,_ZN4RAJA6policy3hip4impl18forallp_hip_kernelINS1_8hip_execINS_17iteration_mapping11StridedLoopILm0EEENS_3hip11IndexGlobalILNS_9named_dimE0ELi256ELi0EEENS8_40AvoidDeviceMaxThreadOccupancyConcretizerINS8_34FractionOffsetOccupancyConcretizerINS_8FractionImLm1ELm1EEELln1EEEEELb1EEENS_9Iterators16numeric_iteratorIllPlEEZN8rajaperf9algorithm10REDUCE_SUM26runHipVariantRAJANewReduceILm256ENSN_11gpu_mapping40global_loop_occupancy_grid_stride_helperEEEvNSN_9VariantIDEEUllRNS_4expt5ValOpIdNS_9operators4plusEEEE_lNSU_15ForallParamPackIJNSU_6detail7ReducerINSX_IdddEEdSY_EEEEES7_SB_TnNSt9enable_ifIXaaaasr3std10is_base_ofINS5_15StridedLoopBaseET4_EE5valuesr3std10is_base_ofINS5_15UnsizedLoopBaseES19_EE5valuegtsrT5_10block_sizeLi0EEmE4typeELm256EEEvT1_T0_T2_T3_,comdat
	.protected	_ZN4RAJA6policy3hip4impl18forallp_hip_kernelINS1_8hip_execINS_17iteration_mapping11StridedLoopILm0EEENS_3hip11IndexGlobalILNS_9named_dimE0ELi256ELi0EEENS8_40AvoidDeviceMaxThreadOccupancyConcretizerINS8_34FractionOffsetOccupancyConcretizerINS_8FractionImLm1ELm1EEELln1EEEEELb1EEENS_9Iterators16numeric_iteratorIllPlEEZN8rajaperf9algorithm10REDUCE_SUM26runHipVariantRAJANewReduceILm256ENSN_11gpu_mapping40global_loop_occupancy_grid_stride_helperEEEvNSN_9VariantIDEEUllRNS_4expt5ValOpIdNS_9operators4plusEEEE_lNSU_15ForallParamPackIJNSU_6detail7ReducerINSX_IdddEEdSY_EEEEES7_SB_TnNSt9enable_ifIXaaaasr3std10is_base_ofINS5_15StridedLoopBaseET4_EE5valuesr3std10is_base_ofINS5_15UnsizedLoopBaseES19_EE5valuegtsrT5_10block_sizeLi0EEmE4typeELm256EEEvT1_T0_T2_T3_ ; -- Begin function _ZN4RAJA6policy3hip4impl18forallp_hip_kernelINS1_8hip_execINS_17iteration_mapping11StridedLoopILm0EEENS_3hip11IndexGlobalILNS_9named_dimE0ELi256ELi0EEENS8_40AvoidDeviceMaxThreadOccupancyConcretizerINS8_34FractionOffsetOccupancyConcretizerINS_8FractionImLm1ELm1EEELln1EEEEELb1EEENS_9Iterators16numeric_iteratorIllPlEEZN8rajaperf9algorithm10REDUCE_SUM26runHipVariantRAJANewReduceILm256ENSN_11gpu_mapping40global_loop_occupancy_grid_stride_helperEEEvNSN_9VariantIDEEUllRNS_4expt5ValOpIdNS_9operators4plusEEEE_lNSU_15ForallParamPackIJNSU_6detail7ReducerINSX_IdddEEdSY_EEEEES7_SB_TnNSt9enable_ifIXaaaasr3std10is_base_ofINS5_15StridedLoopBaseET4_EE5valuesr3std10is_base_ofINS5_15UnsizedLoopBaseES19_EE5valuegtsrT5_10block_sizeLi0EEmE4typeELm256EEEvT1_T0_T2_T3_
	.globl	_ZN4RAJA6policy3hip4impl18forallp_hip_kernelINS1_8hip_execINS_17iteration_mapping11StridedLoopILm0EEENS_3hip11IndexGlobalILNS_9named_dimE0ELi256ELi0EEENS8_40AvoidDeviceMaxThreadOccupancyConcretizerINS8_34FractionOffsetOccupancyConcretizerINS_8FractionImLm1ELm1EEELln1EEEEELb1EEENS_9Iterators16numeric_iteratorIllPlEEZN8rajaperf9algorithm10REDUCE_SUM26runHipVariantRAJANewReduceILm256ENSN_11gpu_mapping40global_loop_occupancy_grid_stride_helperEEEvNSN_9VariantIDEEUllRNS_4expt5ValOpIdNS_9operators4plusEEEE_lNSU_15ForallParamPackIJNSU_6detail7ReducerINSX_IdddEEdSY_EEEEES7_SB_TnNSt9enable_ifIXaaaasr3std10is_base_ofINS5_15StridedLoopBaseET4_EE5valuesr3std10is_base_ofINS5_15UnsizedLoopBaseES19_EE5valuegtsrT5_10block_sizeLi0EEmE4typeELm256EEEvT1_T0_T2_T3_
	.p2align	8
	.type	_ZN4RAJA6policy3hip4impl18forallp_hip_kernelINS1_8hip_execINS_17iteration_mapping11StridedLoopILm0EEENS_3hip11IndexGlobalILNS_9named_dimE0ELi256ELi0EEENS8_40AvoidDeviceMaxThreadOccupancyConcretizerINS8_34FractionOffsetOccupancyConcretizerINS_8FractionImLm1ELm1EEELln1EEEEELb1EEENS_9Iterators16numeric_iteratorIllPlEEZN8rajaperf9algorithm10REDUCE_SUM26runHipVariantRAJANewReduceILm256ENSN_11gpu_mapping40global_loop_occupancy_grid_stride_helperEEEvNSN_9VariantIDEEUllRNS_4expt5ValOpIdNS_9operators4plusEEEE_lNSU_15ForallParamPackIJNSU_6detail7ReducerINSX_IdddEEdSY_EEEEES7_SB_TnNSt9enable_ifIXaaaasr3std10is_base_ofINS5_15StridedLoopBaseET4_EE5valuesr3std10is_base_ofINS5_15UnsizedLoopBaseES19_EE5valuegtsrT5_10block_sizeLi0EEmE4typeELm256EEEvT1_T0_T2_T3_,@function
_ZN4RAJA6policy3hip4impl18forallp_hip_kernelINS1_8hip_execINS_17iteration_mapping11StridedLoopILm0EEENS_3hip11IndexGlobalILNS_9named_dimE0ELi256ELi0EEENS8_40AvoidDeviceMaxThreadOccupancyConcretizerINS8_34FractionOffsetOccupancyConcretizerINS_8FractionImLm1ELm1EEELln1EEEEELb1EEENS_9Iterators16numeric_iteratorIllPlEEZN8rajaperf9algorithm10REDUCE_SUM26runHipVariantRAJANewReduceILm256ENSN_11gpu_mapping40global_loop_occupancy_grid_stride_helperEEEvNSN_9VariantIDEEUllRNS_4expt5ValOpIdNS_9operators4plusEEEE_lNSU_15ForallParamPackIJNSU_6detail7ReducerINSX_IdddEEdSY_EEEEES7_SB_TnNSt9enable_ifIXaaaasr3std10is_base_ofINS5_15StridedLoopBaseET4_EE5valuesr3std10is_base_ofINS5_15UnsizedLoopBaseES19_EE5valuegtsrT5_10block_sizeLi0EEmE4typeELm256EEEvT1_T0_T2_T3_: ; @_ZN4RAJA6policy3hip4impl18forallp_hip_kernelINS1_8hip_execINS_17iteration_mapping11StridedLoopILm0EEENS_3hip11IndexGlobalILNS_9named_dimE0ELi256ELi0EEENS8_40AvoidDeviceMaxThreadOccupancyConcretizerINS8_34FractionOffsetOccupancyConcretizerINS_8FractionImLm1ELm1EEELln1EEEEELb1EEENS_9Iterators16numeric_iteratorIllPlEEZN8rajaperf9algorithm10REDUCE_SUM26runHipVariantRAJANewReduceILm256ENSN_11gpu_mapping40global_loop_occupancy_grid_stride_helperEEEvNSN_9VariantIDEEUllRNS_4expt5ValOpIdNS_9operators4plusEEEE_lNSU_15ForallParamPackIJNSU_6detail7ReducerINSX_IdddEEdSY_EEEEES7_SB_TnNSt9enable_ifIXaaaasr3std10is_base_ofINS5_15StridedLoopBaseET4_EE5valuesr3std10is_base_ofINS5_15UnsizedLoopBaseES19_EE5valuegtsrT5_10block_sizeLi0EEmE4typeELm256EEEvT1_T0_T2_T3_
; %bb.0:
	s_load_dwordx8 s[8:15], s[4:5], 0x0
	s_load_dwordx4 s[16:19], s[4:5], 0x28
	s_load_dwordx2 s[22:23], s[4:5], 0x38
	s_mov_b32 s7, 0
	s_load_dword s20, s[4:5], 0x40
	s_lshl_b64 s[0:1], s[6:7], 8
	v_or_b32_e32 v3, s0, v0
	v_mov_b32_e32 v4, s1
	s_waitcnt lgkmcnt(0)
	v_cmp_gt_i64_e32 vcc, s[12:13], v[3:4]
	s_add_u32 s24, s4, 64
	v_mov_b32_e32 v5, s14
	s_addc_u32 s25, s5, 0
	v_mov_b32_e32 v6, s15
	s_and_saveexec_b64 s[2:3], vcc
	s_cbranch_execz .LBB16_4
; %bb.1:
	s_mov_b32 s21, s7
	s_lshl_b64 s[4:5], s[20:21], 8
	s_lshl_b64 s[0:1], s[6:7], 11
	;; [unrolled: 1-line block ×3, first 2 shown]
	s_add_u32 s0, s0, s10
	s_addc_u32 s1, s1, s11
	s_add_u32 s0, s8, s0
	v_lshlrev_b32_e32 v5, 3, v0
	s_addc_u32 s1, s9, s1
	v_mov_b32_e32 v6, s1
	v_add_co_u32_e32 v7, vcc, s0, v5
	v_addc_co_u32_e32 v8, vcc, 0, v6, vcc
	s_lshl_b64 s[10:11], s[20:21], 11
	v_mov_b32_e32 v5, s14
	s_mov_b64 s[8:9], 0
	v_mov_b32_e32 v6, s15
	v_mov_b32_e32 v9, s11
	;; [unrolled: 1-line block ×3, first 2 shown]
.LBB16_2:                               ; =>This Inner Loop Header: Depth=1
	global_load_dwordx2 v[11:12], v[7:8], off
	v_add_co_u32_e64 v3, s[0:1], s4, v3
	v_addc_co_u32_e64 v4, s[0:1], v4, v10, s[0:1]
	v_cmp_le_i64_e64 s[0:1], s[12:13], v[3:4]
	v_add_co_u32_e32 v7, vcc, s10, v7
	s_or_b64 s[8:9], s[0:1], s[8:9]
	v_addc_co_u32_e32 v8, vcc, v8, v9, vcc
	s_waitcnt vmcnt(0)
	v_add_f64 v[5:6], v[5:6], v[11:12]
	s_andn2_b64 exec, exec, s[8:9]
	s_cbranch_execnz .LBB16_2
; %bb.3:
	s_or_b64 exec, exec, s[8:9]
.LBB16_4:
	s_or_b64 exec, exec, s[2:3]
	v_mbcnt_lo_u32_b32 v3, -1, 0
	v_mbcnt_hi_u32_b32 v12, -1, v3
	v_and_b32_e32 v3, 64, v12
	v_add_u32_e32 v11, 64, v3
	v_xor_b32_e32 v3, 1, v12
	v_cmp_lt_i32_e32 vcc, v3, v11
	v_cndmask_b32_e32 v3, v12, v3, vcc
	v_lshlrev_b32_e32 v7, 2, v3
	ds_bpermute_b32 v3, v7, v5
	ds_bpermute_b32 v4, v7, v6
	s_waitcnt lgkmcnt(0)
	v_add_f64 v[3:4], v[5:6], v[3:4]
	v_xor_b32_e32 v5, 2, v12
	v_cmp_lt_i32_e32 vcc, v5, v11
	v_cndmask_b32_e32 v5, v12, v5, vcc
	v_lshlrev_b32_e32 v5, 2, v5
	v_xor_b32_e32 v6, 4, v12
	v_cmp_lt_i32_e32 vcc, v6, v11
	v_cndmask_b32_e32 v6, v12, v6, vcc
	ds_bpermute_b32 v8, v5, v3
	ds_bpermute_b32 v9, v5, v4
	v_lshlrev_b32_e32 v6, 2, v6
	s_waitcnt lgkmcnt(0)
	v_add_f64 v[3:4], v[3:4], v[8:9]
	ds_bpermute_b32 v8, v6, v3
	ds_bpermute_b32 v9, v6, v4
	s_waitcnt lgkmcnt(0)
	v_add_f64 v[3:4], v[3:4], v[8:9]
	v_xor_b32_e32 v8, 8, v12
	v_cmp_lt_i32_e32 vcc, v8, v11
	v_cndmask_b32_e32 v8, v12, v8, vcc
	v_lshlrev_b32_e32 v8, 2, v8
	ds_bpermute_b32 v9, v8, v3
	ds_bpermute_b32 v10, v8, v4
	s_waitcnt lgkmcnt(0)
	v_add_f64 v[3:4], v[3:4], v[9:10]
	v_xor_b32_e32 v9, 16, v12
	v_cmp_lt_i32_e32 vcc, v9, v11
	v_cndmask_b32_e32 v9, v12, v9, vcc
	v_lshlrev_b32_e32 v10, 2, v9
	v_xor_b32_e32 v9, 32, v12
	v_cmp_lt_i32_e32 vcc, v9, v11
	v_cndmask_b32_e32 v9, v12, v9, vcc
	ds_bpermute_b32 v13, v10, v3
	ds_bpermute_b32 v14, v10, v4
	v_lshlrev_b32_e32 v11, 2, v9
	v_and_b32_e32 v9, 63, v0
	v_cmp_eq_u32_e64 s[0:1], 0, v9
	s_waitcnt lgkmcnt(0)
	v_add_f64 v[3:4], v[3:4], v[13:14]
	ds_bpermute_b32 v13, v11, v3
	ds_bpermute_b32 v14, v11, v4
	s_waitcnt lgkmcnt(0)
	v_add_f64 v[3:4], v[3:4], v[13:14]
	s_and_saveexec_b64 s[2:3], s[0:1]
; %bb.5:
	v_lshrrev_b32_e32 v13, 3, v0
	ds_write_b64 v13, v[3:4] offset:256
; %bb.6:
	s_or_b64 exec, exec, s[2:3]
	v_cmp_gt_u32_e64 s[2:3], 64, v0
	s_waitcnt lgkmcnt(0)
	s_barrier
	s_and_saveexec_b64 s[4:5], s[2:3]
	s_cbranch_execz .LBB16_10
; %bb.7:
	v_mov_b32_e32 v3, 0
	v_mov_b32_e32 v4, 0
	v_cmp_gt_u32_e32 vcc, 4, v9
	s_and_saveexec_b64 s[8:9], vcc
; %bb.8:
	v_lshlrev_b32_e32 v3, 3, v9
	ds_read_b64 v[3:4], v3 offset:256
; %bb.9:
	s_or_b64 exec, exec, s[8:9]
	s_waitcnt lgkmcnt(0)
	ds_bpermute_b32 v13, v7, v3
	ds_bpermute_b32 v14, v7, v4
	s_waitcnt lgkmcnt(0)
	v_add_f64 v[3:4], v[3:4], v[13:14]
	ds_bpermute_b32 v13, v5, v3
	ds_bpermute_b32 v14, v5, v4
	s_waitcnt lgkmcnt(0)
	v_add_f64 v[3:4], v[3:4], v[13:14]
	;; [unrolled: 4-line block ×4, first 2 shown]
.LBB16_10:
	s_or_b64 exec, exec, s[4:5]
	v_mov_b32_e32 v13, 0
	v_cmp_eq_u32_e64 s[4:5], 0, v0
	v_mov_b32_e32 v14, 0
	s_barrier
	s_and_saveexec_b64 s[8:9], s[4:5]
	s_cbranch_execz .LBB16_12
; %bb.11:
	s_bfe_i64 s[10:11], s[6:7], 0x200000
	s_add_i32 s12, s20, -1
	s_lshl_b64 s[10:11], s[10:11], 3
	s_add_u32 s10, s18, s10
	v_mov_b32_e32 v14, 0
	s_addc_u32 s11, s19, s11
	global_store_dwordx2 v14, v[3:4], s[10:11]
	v_mov_b32_e32 v3, s12
	s_waitcnt vmcnt(0)
	buffer_wbinvl1_vol
	global_atomic_inc v3, v14, v3, s[22:23] glc
	s_waitcnt vmcnt(0)
	v_cmp_eq_u32_e32 vcc, s12, v3
	v_cndmask_b32_e64 v14, 0, 1, vcc
.LBB16_12:
	s_or_b64 exec, exec, s[8:9]
	global_load_dword v3, v13, s[24:25] offset:14
	v_or_b32_dpp v4, v14, v14 row_shl:1 row_mask:0xf bank_mask:0xf bound_ctrl:1
	s_waitcnt vmcnt(0)
	v_readfirstlane_b32 s7, v3
	s_lshr_b32 s10, s7, 16
	s_and_b32 s7, s7, 0xffff
	s_cmp_lt_u32 s6, s20
	s_cselect_b32 s6, 12, 18
	s_add_u32 s8, s24, s6
	s_addc_u32 s9, s25, 0
	global_load_ushort v3, v13, s[8:9]
	v_or_b32_dpp v4, v4, v4 row_shl:2 row_mask:0xf bank_mask:0xf bound_ctrl:1
	s_waitcnt vmcnt(0)
	v_readfirstlane_b32 s9, v3
	v_or_b32_dpp v4, v4, v4 row_shl:4 row_mask:0xf bank_mask:0xf bound_ctrl:1
	s_mul_i32 s9, s7, s9
	s_bfe_i32 s9, s9, 0x180000
	v_or_b32_dpp v4, v4, v4 row_shl:8 row_mask:0xf bank_mask:0xf bound_ctrl:1
	s_mul_i32 s9, s9, s10
	s_add_i32 s9, s9, 63
	v_mov_b32_dpp v13, v4 wave_shl:1 row_mask:0xf bank_mask:0xf bound_ctrl:1
	s_bitcmp1_b32 exec_hi, 0
	s_nop 0
	v_or_b32_dpp v4, v13, v4 row_mirror row_mask:0xf bank_mask:0xf bound_ctrl:1
	v_readlane_b32 s6, v4, 32
	v_readlane_b32 s8, v4, 0
	s_cselect_b32 s6, s6, 0
	s_or_b32 s8, s6, s8
	s_andn2_b32 s9, s9, 63
	s_cmp_eq_u32 s9, 64
	v_mov_b32_e32 v4, s8
	s_cbranch_scc1 .LBB16_19
; %bb.13:
	v_mad_u32_u24 v1, v2, s7, v1
	v_mad_u64_u32 v[1:2], s[6:7], v1, v3, v[0:1]
	v_lshrrev_b32_e32 v2, 6, v1
	v_or_b32_e32 v2, v2, v12
	v_cmp_eq_u32_e32 vcc, 0, v2
	s_and_saveexec_b64 s[6:7], vcc
; %bb.14:
	v_mov_b32_e32 v2, 0
	v_mov_b32_e32 v3, s8
	ds_write_b32 v2, v3
; %bb.15:
	s_or_b64 exec, exec, s[6:7]
	v_cmp_eq_u32_e32 vcc, 0, v12
	v_cmp_lt_u32_e64 s[6:7], 63, v1
	s_and_b64 s[10:11], vcc, s[6:7]
	s_waitcnt lgkmcnt(0)
	s_barrier
	s_and_saveexec_b64 s[6:7], s[10:11]
	s_cbranch_execz .LBB16_18
; %bb.16:
	v_mbcnt_lo_u32_b32 v1, exec_lo, 0
	v_mbcnt_hi_u32_b32 v1, exec_hi, v1
	v_cmp_eq_u32_e32 vcc, 0, v1
	s_and_b64 exec, exec, vcc
; %bb.17:
	v_mov_b32_e32 v1, 0
	v_mov_b32_e32 v2, s8
	ds_or_b32 v1, v2
.LBB16_18:
	s_or_b64 exec, exec, s[6:7]
	v_mov_b32_e32 v1, 0
	s_waitcnt lgkmcnt(0)
	s_barrier
	ds_read_b32 v4, v1
	s_waitcnt lgkmcnt(0)
	s_barrier
.LBB16_19:
	v_cmp_eq_u32_e32 vcc, 0, v4
	s_cbranch_vccnz .LBB16_32
; %bb.20:
	v_mov_b32_e32 v1, 0
	v_mov_b32_e32 v2, 0
	v_cmp_gt_i32_e32 vcc, s20, v0
	buffer_wbinvl1_vol
	s_and_saveexec_b64 s[8:9], vcc
	s_cbranch_execz .LBB16_24
; %bb.21:
	v_lshlrev_b32_e32 v1, 3, v0
	v_mov_b32_e32 v2, s19
	v_add_co_u32_e32 v3, vcc, s18, v1
	v_addc_co_u32_e32 v4, vcc, 0, v2, vcc
	v_mov_b32_e32 v1, 0
	v_mov_b32_e32 v2, 0
	s_mov_b64 s[10:11], 0
	v_mov_b32_e32 v12, v0
.LBB16_22:                              ; =>This Inner Loop Header: Depth=1
	global_load_dwordx2 v[13:14], v[3:4], off
	v_add_u32_e32 v12, 0x100, v12
	v_add_co_u32_e32 v3, vcc, 0x800, v3
	v_cmp_le_i32_e64 s[6:7], s20, v12
	s_or_b64 s[10:11], s[6:7], s[10:11]
	v_addc_co_u32_e32 v4, vcc, 0, v4, vcc
	s_waitcnt vmcnt(0)
	v_add_f64 v[1:2], v[1:2], v[13:14]
	s_andn2_b64 exec, exec, s[10:11]
	s_cbranch_execnz .LBB16_22
; %bb.23:
	s_or_b64 exec, exec, s[10:11]
.LBB16_24:
	s_or_b64 exec, exec, s[8:9]
	ds_bpermute_b32 v3, v7, v1
	ds_bpermute_b32 v4, v7, v2
	s_waitcnt lgkmcnt(0)
	v_add_f64 v[1:2], v[1:2], v[3:4]
	ds_bpermute_b32 v3, v5, v1
	ds_bpermute_b32 v4, v5, v2
	s_waitcnt lgkmcnt(0)
	v_add_f64 v[1:2], v[1:2], v[3:4]
	;; [unrolled: 4-line block ×6, first 2 shown]
	s_and_saveexec_b64 s[6:7], s[0:1]
; %bb.25:
	v_lshrrev_b32_e32 v0, 3, v0
	ds_write_b64 v0, v[1:2] offset:256
; %bb.26:
	s_or_b64 exec, exec, s[6:7]
	s_waitcnt lgkmcnt(0)
	s_barrier
	s_and_saveexec_b64 s[0:1], s[2:3]
	s_cbranch_execz .LBB16_30
; %bb.27:
	v_mov_b32_e32 v0, 0
	v_mov_b32_e32 v1, 0
	v_cmp_gt_u32_e32 vcc, 4, v9
	s_and_saveexec_b64 s[2:3], vcc
; %bb.28:
	v_lshlrev_b32_e32 v0, 3, v9
	ds_read_b64 v[0:1], v0 offset:256
; %bb.29:
	s_or_b64 exec, exec, s[2:3]
	s_waitcnt lgkmcnt(0)
	ds_bpermute_b32 v2, v7, v0
	ds_bpermute_b32 v3, v7, v1
	s_waitcnt lgkmcnt(0)
	v_add_f64 v[0:1], v[0:1], v[2:3]
	ds_bpermute_b32 v2, v5, v0
	ds_bpermute_b32 v3, v5, v1
	s_waitcnt lgkmcnt(0)
	v_add_f64 v[0:1], v[0:1], v[2:3]
	;; [unrolled: 4-line block ×4, first 2 shown]
.LBB16_30:
	s_or_b64 exec, exec, s[0:1]
	s_barrier
	s_and_saveexec_b64 s[0:1], s[4:5]
	s_cbranch_execz .LBB16_32
; %bb.31:
	v_mov_b32_e32 v0, 0
	global_store_dwordx2 v0, v[1:2], s[16:17]
.LBB16_32:
	s_endpgm
	.section	.rodata,"a",@progbits
	.p2align	6, 0x0
	.amdhsa_kernel _ZN4RAJA6policy3hip4impl18forallp_hip_kernelINS1_8hip_execINS_17iteration_mapping11StridedLoopILm0EEENS_3hip11IndexGlobalILNS_9named_dimE0ELi256ELi0EEENS8_40AvoidDeviceMaxThreadOccupancyConcretizerINS8_34FractionOffsetOccupancyConcretizerINS_8FractionImLm1ELm1EEELln1EEEEELb1EEENS_9Iterators16numeric_iteratorIllPlEEZN8rajaperf9algorithm10REDUCE_SUM26runHipVariantRAJANewReduceILm256ENSN_11gpu_mapping40global_loop_occupancy_grid_stride_helperEEEvNSN_9VariantIDEEUllRNS_4expt5ValOpIdNS_9operators4plusEEEE_lNSU_15ForallParamPackIJNSU_6detail7ReducerINSX_IdddEEdSY_EEEEES7_SB_TnNSt9enable_ifIXaaaasr3std10is_base_ofINS5_15StridedLoopBaseET4_EE5valuesr3std10is_base_ofINS5_15UnsizedLoopBaseES19_EE5valuegtsrT5_10block_sizeLi0EEmE4typeELm256EEEvT1_T0_T2_T3_
		.amdhsa_group_segment_fixed_size 384
		.amdhsa_private_segment_fixed_size 0
		.amdhsa_kernarg_size 320
		.amdhsa_user_sgpr_count 6
		.amdhsa_user_sgpr_private_segment_buffer 1
		.amdhsa_user_sgpr_dispatch_ptr 0
		.amdhsa_user_sgpr_queue_ptr 0
		.amdhsa_user_sgpr_kernarg_segment_ptr 1
		.amdhsa_user_sgpr_dispatch_id 0
		.amdhsa_user_sgpr_flat_scratch_init 0
		.amdhsa_user_sgpr_private_segment_size 0
		.amdhsa_uses_dynamic_stack 0
		.amdhsa_system_sgpr_private_segment_wavefront_offset 0
		.amdhsa_system_sgpr_workgroup_id_x 1
		.amdhsa_system_sgpr_workgroup_id_y 0
		.amdhsa_system_sgpr_workgroup_id_z 0
		.amdhsa_system_sgpr_workgroup_info 0
		.amdhsa_system_vgpr_workitem_id 2
		.amdhsa_next_free_vgpr 15
		.amdhsa_next_free_sgpr 26
		.amdhsa_reserve_vcc 1
		.amdhsa_reserve_flat_scratch 0
		.amdhsa_float_round_mode_32 0
		.amdhsa_float_round_mode_16_64 0
		.amdhsa_float_denorm_mode_32 3
		.amdhsa_float_denorm_mode_16_64 3
		.amdhsa_dx10_clamp 1
		.amdhsa_ieee_mode 1
		.amdhsa_fp16_overflow 0
		.amdhsa_exception_fp_ieee_invalid_op 0
		.amdhsa_exception_fp_denorm_src 0
		.amdhsa_exception_fp_ieee_div_zero 0
		.amdhsa_exception_fp_ieee_overflow 0
		.amdhsa_exception_fp_ieee_underflow 0
		.amdhsa_exception_fp_ieee_inexact 0
		.amdhsa_exception_int_div_zero 0
	.end_amdhsa_kernel
	.section	.text._ZN4RAJA6policy3hip4impl18forallp_hip_kernelINS1_8hip_execINS_17iteration_mapping11StridedLoopILm0EEENS_3hip11IndexGlobalILNS_9named_dimE0ELi256ELi0EEENS8_40AvoidDeviceMaxThreadOccupancyConcretizerINS8_34FractionOffsetOccupancyConcretizerINS_8FractionImLm1ELm1EEELln1EEEEELb1EEENS_9Iterators16numeric_iteratorIllPlEEZN8rajaperf9algorithm10REDUCE_SUM26runHipVariantRAJANewReduceILm256ENSN_11gpu_mapping40global_loop_occupancy_grid_stride_helperEEEvNSN_9VariantIDEEUllRNS_4expt5ValOpIdNS_9operators4plusEEEE_lNSU_15ForallParamPackIJNSU_6detail7ReducerINSX_IdddEEdSY_EEEEES7_SB_TnNSt9enable_ifIXaaaasr3std10is_base_ofINS5_15StridedLoopBaseET4_EE5valuesr3std10is_base_ofINS5_15UnsizedLoopBaseES19_EE5valuegtsrT5_10block_sizeLi0EEmE4typeELm256EEEvT1_T0_T2_T3_,"axG",@progbits,_ZN4RAJA6policy3hip4impl18forallp_hip_kernelINS1_8hip_execINS_17iteration_mapping11StridedLoopILm0EEENS_3hip11IndexGlobalILNS_9named_dimE0ELi256ELi0EEENS8_40AvoidDeviceMaxThreadOccupancyConcretizerINS8_34FractionOffsetOccupancyConcretizerINS_8FractionImLm1ELm1EEELln1EEEEELb1EEENS_9Iterators16numeric_iteratorIllPlEEZN8rajaperf9algorithm10REDUCE_SUM26runHipVariantRAJANewReduceILm256ENSN_11gpu_mapping40global_loop_occupancy_grid_stride_helperEEEvNSN_9VariantIDEEUllRNS_4expt5ValOpIdNS_9operators4plusEEEE_lNSU_15ForallParamPackIJNSU_6detail7ReducerINSX_IdddEEdSY_EEEEES7_SB_TnNSt9enable_ifIXaaaasr3std10is_base_ofINS5_15StridedLoopBaseET4_EE5valuesr3std10is_base_ofINS5_15UnsizedLoopBaseES19_EE5valuegtsrT5_10block_sizeLi0EEmE4typeELm256EEEvT1_T0_T2_T3_,comdat
.Lfunc_end16:
	.size	_ZN4RAJA6policy3hip4impl18forallp_hip_kernelINS1_8hip_execINS_17iteration_mapping11StridedLoopILm0EEENS_3hip11IndexGlobalILNS_9named_dimE0ELi256ELi0EEENS8_40AvoidDeviceMaxThreadOccupancyConcretizerINS8_34FractionOffsetOccupancyConcretizerINS_8FractionImLm1ELm1EEELln1EEEEELb1EEENS_9Iterators16numeric_iteratorIllPlEEZN8rajaperf9algorithm10REDUCE_SUM26runHipVariantRAJANewReduceILm256ENSN_11gpu_mapping40global_loop_occupancy_grid_stride_helperEEEvNSN_9VariantIDEEUllRNS_4expt5ValOpIdNS_9operators4plusEEEE_lNSU_15ForallParamPackIJNSU_6detail7ReducerINSX_IdddEEdSY_EEEEES7_SB_TnNSt9enable_ifIXaaaasr3std10is_base_ofINS5_15StridedLoopBaseET4_EE5valuesr3std10is_base_ofINS5_15UnsizedLoopBaseES19_EE5valuegtsrT5_10block_sizeLi0EEmE4typeELm256EEEvT1_T0_T2_T3_, .Lfunc_end16-_ZN4RAJA6policy3hip4impl18forallp_hip_kernelINS1_8hip_execINS_17iteration_mapping11StridedLoopILm0EEENS_3hip11IndexGlobalILNS_9named_dimE0ELi256ELi0EEENS8_40AvoidDeviceMaxThreadOccupancyConcretizerINS8_34FractionOffsetOccupancyConcretizerINS_8FractionImLm1ELm1EEELln1EEEEELb1EEENS_9Iterators16numeric_iteratorIllPlEEZN8rajaperf9algorithm10REDUCE_SUM26runHipVariantRAJANewReduceILm256ENSN_11gpu_mapping40global_loop_occupancy_grid_stride_helperEEEvNSN_9VariantIDEEUllRNS_4expt5ValOpIdNS_9operators4plusEEEE_lNSU_15ForallParamPackIJNSU_6detail7ReducerINSX_IdddEEdSY_EEEEES7_SB_TnNSt9enable_ifIXaaaasr3std10is_base_ofINS5_15StridedLoopBaseET4_EE5valuesr3std10is_base_ofINS5_15UnsizedLoopBaseES19_EE5valuegtsrT5_10block_sizeLi0EEmE4typeELm256EEEvT1_T0_T2_T3_
                                        ; -- End function
	.set _ZN4RAJA6policy3hip4impl18forallp_hip_kernelINS1_8hip_execINS_17iteration_mapping11StridedLoopILm0EEENS_3hip11IndexGlobalILNS_9named_dimE0ELi256ELi0EEENS8_40AvoidDeviceMaxThreadOccupancyConcretizerINS8_34FractionOffsetOccupancyConcretizerINS_8FractionImLm1ELm1EEELln1EEEEELb1EEENS_9Iterators16numeric_iteratorIllPlEEZN8rajaperf9algorithm10REDUCE_SUM26runHipVariantRAJANewReduceILm256ENSN_11gpu_mapping40global_loop_occupancy_grid_stride_helperEEEvNSN_9VariantIDEEUllRNS_4expt5ValOpIdNS_9operators4plusEEEE_lNSU_15ForallParamPackIJNSU_6detail7ReducerINSX_IdddEEdSY_EEEEES7_SB_TnNSt9enable_ifIXaaaasr3std10is_base_ofINS5_15StridedLoopBaseET4_EE5valuesr3std10is_base_ofINS5_15UnsizedLoopBaseES19_EE5valuegtsrT5_10block_sizeLi0EEmE4typeELm256EEEvT1_T0_T2_T3_.num_vgpr, 15
	.set _ZN4RAJA6policy3hip4impl18forallp_hip_kernelINS1_8hip_execINS_17iteration_mapping11StridedLoopILm0EEENS_3hip11IndexGlobalILNS_9named_dimE0ELi256ELi0EEENS8_40AvoidDeviceMaxThreadOccupancyConcretizerINS8_34FractionOffsetOccupancyConcretizerINS_8FractionImLm1ELm1EEELln1EEEEELb1EEENS_9Iterators16numeric_iteratorIllPlEEZN8rajaperf9algorithm10REDUCE_SUM26runHipVariantRAJANewReduceILm256ENSN_11gpu_mapping40global_loop_occupancy_grid_stride_helperEEEvNSN_9VariantIDEEUllRNS_4expt5ValOpIdNS_9operators4plusEEEE_lNSU_15ForallParamPackIJNSU_6detail7ReducerINSX_IdddEEdSY_EEEEES7_SB_TnNSt9enable_ifIXaaaasr3std10is_base_ofINS5_15StridedLoopBaseET4_EE5valuesr3std10is_base_ofINS5_15UnsizedLoopBaseES19_EE5valuegtsrT5_10block_sizeLi0EEmE4typeELm256EEEvT1_T0_T2_T3_.num_agpr, 0
	.set _ZN4RAJA6policy3hip4impl18forallp_hip_kernelINS1_8hip_execINS_17iteration_mapping11StridedLoopILm0EEENS_3hip11IndexGlobalILNS_9named_dimE0ELi256ELi0EEENS8_40AvoidDeviceMaxThreadOccupancyConcretizerINS8_34FractionOffsetOccupancyConcretizerINS_8FractionImLm1ELm1EEELln1EEEEELb1EEENS_9Iterators16numeric_iteratorIllPlEEZN8rajaperf9algorithm10REDUCE_SUM26runHipVariantRAJANewReduceILm256ENSN_11gpu_mapping40global_loop_occupancy_grid_stride_helperEEEvNSN_9VariantIDEEUllRNS_4expt5ValOpIdNS_9operators4plusEEEE_lNSU_15ForallParamPackIJNSU_6detail7ReducerINSX_IdddEEdSY_EEEEES7_SB_TnNSt9enable_ifIXaaaasr3std10is_base_ofINS5_15StridedLoopBaseET4_EE5valuesr3std10is_base_ofINS5_15UnsizedLoopBaseES19_EE5valuegtsrT5_10block_sizeLi0EEmE4typeELm256EEEvT1_T0_T2_T3_.numbered_sgpr, 26
	.set _ZN4RAJA6policy3hip4impl18forallp_hip_kernelINS1_8hip_execINS_17iteration_mapping11StridedLoopILm0EEENS_3hip11IndexGlobalILNS_9named_dimE0ELi256ELi0EEENS8_40AvoidDeviceMaxThreadOccupancyConcretizerINS8_34FractionOffsetOccupancyConcretizerINS_8FractionImLm1ELm1EEELln1EEEEELb1EEENS_9Iterators16numeric_iteratorIllPlEEZN8rajaperf9algorithm10REDUCE_SUM26runHipVariantRAJANewReduceILm256ENSN_11gpu_mapping40global_loop_occupancy_grid_stride_helperEEEvNSN_9VariantIDEEUllRNS_4expt5ValOpIdNS_9operators4plusEEEE_lNSU_15ForallParamPackIJNSU_6detail7ReducerINSX_IdddEEdSY_EEEEES7_SB_TnNSt9enable_ifIXaaaasr3std10is_base_ofINS5_15StridedLoopBaseET4_EE5valuesr3std10is_base_ofINS5_15UnsizedLoopBaseES19_EE5valuegtsrT5_10block_sizeLi0EEmE4typeELm256EEEvT1_T0_T2_T3_.num_named_barrier, 0
	.set _ZN4RAJA6policy3hip4impl18forallp_hip_kernelINS1_8hip_execINS_17iteration_mapping11StridedLoopILm0EEENS_3hip11IndexGlobalILNS_9named_dimE0ELi256ELi0EEENS8_40AvoidDeviceMaxThreadOccupancyConcretizerINS8_34FractionOffsetOccupancyConcretizerINS_8FractionImLm1ELm1EEELln1EEEEELb1EEENS_9Iterators16numeric_iteratorIllPlEEZN8rajaperf9algorithm10REDUCE_SUM26runHipVariantRAJANewReduceILm256ENSN_11gpu_mapping40global_loop_occupancy_grid_stride_helperEEEvNSN_9VariantIDEEUllRNS_4expt5ValOpIdNS_9operators4plusEEEE_lNSU_15ForallParamPackIJNSU_6detail7ReducerINSX_IdddEEdSY_EEEEES7_SB_TnNSt9enable_ifIXaaaasr3std10is_base_ofINS5_15StridedLoopBaseET4_EE5valuesr3std10is_base_ofINS5_15UnsizedLoopBaseES19_EE5valuegtsrT5_10block_sizeLi0EEmE4typeELm256EEEvT1_T0_T2_T3_.private_seg_size, 0
	.set _ZN4RAJA6policy3hip4impl18forallp_hip_kernelINS1_8hip_execINS_17iteration_mapping11StridedLoopILm0EEENS_3hip11IndexGlobalILNS_9named_dimE0ELi256ELi0EEENS8_40AvoidDeviceMaxThreadOccupancyConcretizerINS8_34FractionOffsetOccupancyConcretizerINS_8FractionImLm1ELm1EEELln1EEEEELb1EEENS_9Iterators16numeric_iteratorIllPlEEZN8rajaperf9algorithm10REDUCE_SUM26runHipVariantRAJANewReduceILm256ENSN_11gpu_mapping40global_loop_occupancy_grid_stride_helperEEEvNSN_9VariantIDEEUllRNS_4expt5ValOpIdNS_9operators4plusEEEE_lNSU_15ForallParamPackIJNSU_6detail7ReducerINSX_IdddEEdSY_EEEEES7_SB_TnNSt9enable_ifIXaaaasr3std10is_base_ofINS5_15StridedLoopBaseET4_EE5valuesr3std10is_base_ofINS5_15UnsizedLoopBaseES19_EE5valuegtsrT5_10block_sizeLi0EEmE4typeELm256EEEvT1_T0_T2_T3_.uses_vcc, 1
	.set _ZN4RAJA6policy3hip4impl18forallp_hip_kernelINS1_8hip_execINS_17iteration_mapping11StridedLoopILm0EEENS_3hip11IndexGlobalILNS_9named_dimE0ELi256ELi0EEENS8_40AvoidDeviceMaxThreadOccupancyConcretizerINS8_34FractionOffsetOccupancyConcretizerINS_8FractionImLm1ELm1EEELln1EEEEELb1EEENS_9Iterators16numeric_iteratorIllPlEEZN8rajaperf9algorithm10REDUCE_SUM26runHipVariantRAJANewReduceILm256ENSN_11gpu_mapping40global_loop_occupancy_grid_stride_helperEEEvNSN_9VariantIDEEUllRNS_4expt5ValOpIdNS_9operators4plusEEEE_lNSU_15ForallParamPackIJNSU_6detail7ReducerINSX_IdddEEdSY_EEEEES7_SB_TnNSt9enable_ifIXaaaasr3std10is_base_ofINS5_15StridedLoopBaseET4_EE5valuesr3std10is_base_ofINS5_15UnsizedLoopBaseES19_EE5valuegtsrT5_10block_sizeLi0EEmE4typeELm256EEEvT1_T0_T2_T3_.uses_flat_scratch, 0
	.set _ZN4RAJA6policy3hip4impl18forallp_hip_kernelINS1_8hip_execINS_17iteration_mapping11StridedLoopILm0EEENS_3hip11IndexGlobalILNS_9named_dimE0ELi256ELi0EEENS8_40AvoidDeviceMaxThreadOccupancyConcretizerINS8_34FractionOffsetOccupancyConcretizerINS_8FractionImLm1ELm1EEELln1EEEEELb1EEENS_9Iterators16numeric_iteratorIllPlEEZN8rajaperf9algorithm10REDUCE_SUM26runHipVariantRAJANewReduceILm256ENSN_11gpu_mapping40global_loop_occupancy_grid_stride_helperEEEvNSN_9VariantIDEEUllRNS_4expt5ValOpIdNS_9operators4plusEEEE_lNSU_15ForallParamPackIJNSU_6detail7ReducerINSX_IdddEEdSY_EEEEES7_SB_TnNSt9enable_ifIXaaaasr3std10is_base_ofINS5_15StridedLoopBaseET4_EE5valuesr3std10is_base_ofINS5_15UnsizedLoopBaseES19_EE5valuegtsrT5_10block_sizeLi0EEmE4typeELm256EEEvT1_T0_T2_T3_.has_dyn_sized_stack, 0
	.set _ZN4RAJA6policy3hip4impl18forallp_hip_kernelINS1_8hip_execINS_17iteration_mapping11StridedLoopILm0EEENS_3hip11IndexGlobalILNS_9named_dimE0ELi256ELi0EEENS8_40AvoidDeviceMaxThreadOccupancyConcretizerINS8_34FractionOffsetOccupancyConcretizerINS_8FractionImLm1ELm1EEELln1EEEEELb1EEENS_9Iterators16numeric_iteratorIllPlEEZN8rajaperf9algorithm10REDUCE_SUM26runHipVariantRAJANewReduceILm256ENSN_11gpu_mapping40global_loop_occupancy_grid_stride_helperEEEvNSN_9VariantIDEEUllRNS_4expt5ValOpIdNS_9operators4plusEEEE_lNSU_15ForallParamPackIJNSU_6detail7ReducerINSX_IdddEEdSY_EEEEES7_SB_TnNSt9enable_ifIXaaaasr3std10is_base_ofINS5_15StridedLoopBaseET4_EE5valuesr3std10is_base_ofINS5_15UnsizedLoopBaseES19_EE5valuegtsrT5_10block_sizeLi0EEmE4typeELm256EEEvT1_T0_T2_T3_.has_recursion, 0
	.set _ZN4RAJA6policy3hip4impl18forallp_hip_kernelINS1_8hip_execINS_17iteration_mapping11StridedLoopILm0EEENS_3hip11IndexGlobalILNS_9named_dimE0ELi256ELi0EEENS8_40AvoidDeviceMaxThreadOccupancyConcretizerINS8_34FractionOffsetOccupancyConcretizerINS_8FractionImLm1ELm1EEELln1EEEEELb1EEENS_9Iterators16numeric_iteratorIllPlEEZN8rajaperf9algorithm10REDUCE_SUM26runHipVariantRAJANewReduceILm256ENSN_11gpu_mapping40global_loop_occupancy_grid_stride_helperEEEvNSN_9VariantIDEEUllRNS_4expt5ValOpIdNS_9operators4plusEEEE_lNSU_15ForallParamPackIJNSU_6detail7ReducerINSX_IdddEEdSY_EEEEES7_SB_TnNSt9enable_ifIXaaaasr3std10is_base_ofINS5_15StridedLoopBaseET4_EE5valuesr3std10is_base_ofINS5_15UnsizedLoopBaseES19_EE5valuegtsrT5_10block_sizeLi0EEmE4typeELm256EEEvT1_T0_T2_T3_.has_indirect_call, 0
	.section	.AMDGPU.csdata,"",@progbits
; Kernel info:
; codeLenInByte = 1680
; TotalNumSgprs: 30
; NumVgprs: 15
; ScratchSize: 0
; MemoryBound: 0
; FloatMode: 240
; IeeeMode: 1
; LDSByteSize: 384 bytes/workgroup (compile time only)
; SGPRBlocks: 3
; VGPRBlocks: 3
; NumSGPRsForWavesPerEU: 30
; NumVGPRsForWavesPerEU: 15
; Occupancy: 10
; WaveLimiterHint : 0
; COMPUTE_PGM_RSRC2:SCRATCH_EN: 0
; COMPUTE_PGM_RSRC2:USER_SGPR: 6
; COMPUTE_PGM_RSRC2:TRAP_HANDLER: 0
; COMPUTE_PGM_RSRC2:TGID_X_EN: 1
; COMPUTE_PGM_RSRC2:TGID_Y_EN: 0
; COMPUTE_PGM_RSRC2:TGID_Z_EN: 0
; COMPUTE_PGM_RSRC2:TIDIG_COMP_CNT: 2
	.section	.AMDGPU.gpr_maximums,"",@progbits
	.set amdgpu.max_num_vgpr, 0
	.set amdgpu.max_num_agpr, 0
	.set amdgpu.max_num_sgpr, 0
	.section	.AMDGPU.csdata,"",@progbits
	.type	__hip_cuid_d80cd44d98d5dbe6,@object ; @__hip_cuid_d80cd44d98d5dbe6
	.section	.bss,"aw",@nobits
	.globl	__hip_cuid_d80cd44d98d5dbe6
__hip_cuid_d80cd44d98d5dbe6:
	.byte	0                               ; 0x0
	.size	__hip_cuid_d80cd44d98d5dbe6, 1

	.ident	"AMD clang version 22.0.0git (https://github.com/RadeonOpenCompute/llvm-project roc-7.2.4 26084 f58b06dce1f9c15707c5f808fd002e18c2accf7e)"
	.section	".note.GNU-stack","",@progbits
	.addrsig
	.addrsig_sym __hip_cuid_d80cd44d98d5dbe6
	.amdgpu_metadata
---
amdhsa.kernels:
  - .args:
      - .address_space:  global
        .offset:         0
        .size:           8
        .value_kind:     global_buffer
      - .offset:         8
        .size:           8
        .value_kind:     by_value
      - .address_space:  global
        .offset:         16
        .size:           8
        .value_kind:     global_buffer
      - .offset:         24
        .size:           8
        .value_kind:     by_value
      - .offset:         32
        .size:           1
        .value_kind:     by_value
    .group_segment_fixed_size: 32
    .kernarg_segment_align: 8
    .kernarg_segment_size: 36
    .language:       OpenCL C
    .language_version:
      - 2
      - 0
    .max_flat_workgroup_size: 128
    .name:           _ZN7rocprim6detail19block_reduce_kernelILb0ELb1ELj1ENS0_21wrapped_reduce_configINS_14default_configEdEEdPdS5_dNS_4plusIdEEEEvT4_mT5_T6_T7_
    .private_segment_fixed_size: 0
    .sgpr_count:     20
    .sgpr_spill_count: 0
    .symbol:         _ZN7rocprim6detail19block_reduce_kernelILb0ELb1ELj1ENS0_21wrapped_reduce_configINS_14default_configEdEEdPdS5_dNS_4plusIdEEEEvT4_mT5_T6_T7_.kd
    .uniform_work_group_size: 1
    .uses_dynamic_stack: false
    .vgpr_count:     20
    .vgpr_spill_count: 0
    .wavefront_size: 64
  - .args:
      - .address_space:  global
        .offset:         0
        .size:           8
        .value_kind:     global_buffer
      - .offset:         8
        .size:           8
        .value_kind:     by_value
      - .address_space:  global
        .offset:         16
        .size:           8
        .value_kind:     global_buffer
      - .offset:         24
        .size:           8
        .value_kind:     by_value
      - .offset:         32
        .size:           1
        .value_kind:     by_value
    .group_segment_fixed_size: 32
    .kernarg_segment_align: 8
    .kernarg_segment_size: 36
    .language:       OpenCL C
    .language_version:
      - 2
      - 0
    .max_flat_workgroup_size: 128
    .name:           _ZN7rocprim6detail19block_reduce_kernelILb1ELb1ELj2ENS0_21wrapped_reduce_configINS_14default_configEdEEdPdS5_dNS_4plusIdEEEEvT4_mT5_T6_T7_
    .private_segment_fixed_size: 0
    .sgpr_count:     29
    .sgpr_spill_count: 0
    .symbol:         _ZN7rocprim6detail19block_reduce_kernelILb1ELb1ELj2ENS0_21wrapped_reduce_configINS_14default_configEdEEdPdS5_dNS_4plusIdEEEEvT4_mT5_T6_T7_.kd
    .uniform_work_group_size: 1
    .uses_dynamic_stack: false
    .vgpr_count:     22
    .vgpr_spill_count: 0
    .wavefront_size: 64
  - .args:
      - .address_space:  global
        .offset:         0
        .size:           8
        .value_kind:     global_buffer
      - .offset:         8
        .size:           8
        .value_kind:     by_value
      - .address_space:  global
        .offset:         16
        .size:           8
        .value_kind:     global_buffer
      - .offset:         24
        .size:           8
        .value_kind:     by_value
      - .offset:         32
        .size:           1
        .value_kind:     by_value
    .group_segment_fixed_size: 32
    .kernarg_segment_align: 8
    .kernarg_segment_size: 36
    .language:       OpenCL C
    .language_version:
      - 2
      - 0
    .max_flat_workgroup_size: 128
    .name:           _ZN7rocprim6detail19block_reduce_kernelILb1ELb1ELj4ENS0_21wrapped_reduce_configINS_14default_configEdEEdPdS5_dNS_4plusIdEEEEvT4_mT5_T6_T7_
    .private_segment_fixed_size: 0
    .sgpr_count:     48
    .sgpr_spill_count: 0
    .symbol:         _ZN7rocprim6detail19block_reduce_kernelILb1ELb1ELj4ENS0_21wrapped_reduce_configINS_14default_configEdEEdPdS5_dNS_4plusIdEEEEvT4_mT5_T6_T7_.kd
    .uniform_work_group_size: 1
    .uses_dynamic_stack: false
    .vgpr_count:     36
    .vgpr_spill_count: 0
    .wavefront_size: 64
  - .args:
      - .address_space:  global
        .offset:         0
        .size:           8
        .value_kind:     global_buffer
      - .offset:         8
        .size:           8
        .value_kind:     by_value
      - .address_space:  global
        .offset:         16
        .size:           8
        .value_kind:     global_buffer
      - .offset:         24
        .size:           8
        .value_kind:     by_value
      - .offset:         32
        .size:           1
        .value_kind:     by_value
    .group_segment_fixed_size: 32
    .kernarg_segment_align: 8
    .kernarg_segment_size: 36
    .language:       OpenCL C
    .language_version:
      - 2
      - 0
    .max_flat_workgroup_size: 128
    .name:           _ZN7rocprim6detail19block_reduce_kernelILb1ELb1ELj8ENS0_21wrapped_reduce_configINS_14default_configEdEEdPdS5_dNS_4plusIdEEEEvT4_mT5_T6_T7_
    .private_segment_fixed_size: 0
    .sgpr_count:     78
    .sgpr_spill_count: 0
    .symbol:         _ZN7rocprim6detail19block_reduce_kernelILb1ELb1ELj8ENS0_21wrapped_reduce_configINS_14default_configEdEEdPdS5_dNS_4plusIdEEEEvT4_mT5_T6_T7_.kd
    .uniform_work_group_size: 1
    .uses_dynamic_stack: false
    .vgpr_count:     68
    .vgpr_spill_count: 0
    .wavefront_size: 64
  - .args:
      - .address_space:  global
        .offset:         0
        .size:           8
        .value_kind:     global_buffer
      - .offset:         8
        .size:           8
        .value_kind:     by_value
      - .address_space:  global
        .offset:         16
        .size:           8
        .value_kind:     global_buffer
      - .offset:         24
        .size:           8
        .value_kind:     by_value
      - .offset:         32
        .size:           1
        .value_kind:     by_value
    .group_segment_fixed_size: 32
    .kernarg_segment_align: 8
    .kernarg_segment_size: 36
    .language:       OpenCL C
    .language_version:
      - 2
      - 0
    .max_flat_workgroup_size: 128
    .name:           _ZN7rocprim6detail19block_reduce_kernelILb1ELb1ELj16ENS0_21wrapped_reduce_configINS_14default_configEdEEdPdS5_dNS_4plusIdEEEEvT4_mT5_T6_T7_
    .private_segment_fixed_size: 0
    .sgpr_count:     100
    .sgpr_spill_count: 42
    .symbol:         _ZN7rocprim6detail19block_reduce_kernelILb1ELb1ELj16ENS0_21wrapped_reduce_configINS_14default_configEdEEdPdS5_dNS_4plusIdEEEEvT4_mT5_T6_T7_.kd
    .uniform_work_group_size: 1
    .uses_dynamic_stack: false
    .vgpr_count:     133
    .vgpr_spill_count: 0
    .wavefront_size: 64
  - .args:
      - .address_space:  global
        .offset:         0
        .size:           8
        .value_kind:     global_buffer
      - .offset:         8
        .size:           8
        .value_kind:     by_value
      - .address_space:  global
        .offset:         16
        .size:           8
        .value_kind:     global_buffer
      - .offset:         24
        .size:           8
        .value_kind:     by_value
      - .offset:         32
        .size:           1
        .value_kind:     by_value
    .group_segment_fixed_size: 32
    .kernarg_segment_align: 8
    .kernarg_segment_size: 36
    .language:       OpenCL C
    .language_version:
      - 2
      - 0
    .max_flat_workgroup_size: 128
    .name:           _ZN7rocprim6detail19block_reduce_kernelILb1ELb0ELj16ENS0_21wrapped_reduce_configINS_14default_configEdEEdPdS5_dNS_4plusIdEEEEvT4_mT5_T6_T7_
    .private_segment_fixed_size: 0
    .sgpr_count:     20
    .sgpr_spill_count: 0
    .symbol:         _ZN7rocprim6detail19block_reduce_kernelILb1ELb0ELj16ENS0_21wrapped_reduce_configINS_14default_configEdEEdPdS5_dNS_4plusIdEEEEvT4_mT5_T6_T7_.kd
    .uniform_work_group_size: 1
    .uses_dynamic_stack: false
    .vgpr_count:     9
    .vgpr_spill_count: 0
    .wavefront_size: 64
  - .args:
      - .address_space:  global
        .offset:         0
        .size:           8
        .value_kind:     global_buffer
      - .offset:         8
        .size:           8
        .value_kind:     by_value
      - .address_space:  global
        .offset:         16
        .size:           8
        .value_kind:     global_buffer
      - .offset:         24
        .size:           8
        .value_kind:     by_value
      - .offset:         32
        .size:           1
        .value_kind:     by_value
    .group_segment_fixed_size: 32
    .kernarg_segment_align: 8
    .kernarg_segment_size: 36
    .language:       OpenCL C
    .language_version:
      - 2
      - 0
    .max_flat_workgroup_size: 128
    .name:           _ZN7rocprim6detail19block_reduce_kernelILb1ELb0ELj8ENS0_21wrapped_reduce_configINS_14default_configEdEEdPdS5_dNS_4plusIdEEEEvT4_mT5_T6_T7_
    .private_segment_fixed_size: 0
    .sgpr_count:     20
    .sgpr_spill_count: 0
    .symbol:         _ZN7rocprim6detail19block_reduce_kernelILb1ELb0ELj8ENS0_21wrapped_reduce_configINS_14default_configEdEEdPdS5_dNS_4plusIdEEEEvT4_mT5_T6_T7_.kd
    .uniform_work_group_size: 1
    .uses_dynamic_stack: false
    .vgpr_count:     9
    .vgpr_spill_count: 0
    .wavefront_size: 64
  - .args:
      - .address_space:  global
        .offset:         0
        .size:           8
        .value_kind:     global_buffer
      - .offset:         8
        .size:           8
        .value_kind:     by_value
      - .address_space:  global
        .offset:         16
        .size:           8
        .value_kind:     global_buffer
      - .offset:         24
        .size:           8
        .value_kind:     by_value
      - .offset:         32
        .size:           1
        .value_kind:     by_value
    .group_segment_fixed_size: 32
    .kernarg_segment_align: 8
    .kernarg_segment_size: 36
    .language:       OpenCL C
    .language_version:
      - 2
      - 0
    .max_flat_workgroup_size: 128
    .name:           _ZN7rocprim6detail19block_reduce_kernelILb1ELb0ELj4ENS0_21wrapped_reduce_configINS_14default_configEdEEdPdS5_dNS_4plusIdEEEEvT4_mT5_T6_T7_
    .private_segment_fixed_size: 0
    .sgpr_count:     20
    .sgpr_spill_count: 0
    .symbol:         _ZN7rocprim6detail19block_reduce_kernelILb1ELb0ELj4ENS0_21wrapped_reduce_configINS_14default_configEdEEdPdS5_dNS_4plusIdEEEEvT4_mT5_T6_T7_.kd
    .uniform_work_group_size: 1
    .uses_dynamic_stack: false
    .vgpr_count:     9
    .vgpr_spill_count: 0
    .wavefront_size: 64
  - .args:
      - .address_space:  global
        .offset:         0
        .size:           8
        .value_kind:     global_buffer
      - .offset:         8
        .size:           8
        .value_kind:     by_value
      - .address_space:  global
        .offset:         16
        .size:           8
        .value_kind:     global_buffer
      - .offset:         24
        .size:           8
        .value_kind:     by_value
      - .offset:         32
        .size:           1
        .value_kind:     by_value
    .group_segment_fixed_size: 32
    .kernarg_segment_align: 8
    .kernarg_segment_size: 36
    .language:       OpenCL C
    .language_version:
      - 2
      - 0
    .max_flat_workgroup_size: 128
    .name:           _ZN7rocprim6detail19block_reduce_kernelILb1ELb0ELj2ENS0_21wrapped_reduce_configINS_14default_configEdEEdPdS5_dNS_4plusIdEEEEvT4_mT5_T6_T7_
    .private_segment_fixed_size: 0
    .sgpr_count:     20
    .sgpr_spill_count: 0
    .symbol:         _ZN7rocprim6detail19block_reduce_kernelILb1ELb0ELj2ENS0_21wrapped_reduce_configINS_14default_configEdEEdPdS5_dNS_4plusIdEEEEvT4_mT5_T6_T7_.kd
    .uniform_work_group_size: 1
    .uses_dynamic_stack: false
    .vgpr_count:     12
    .vgpr_spill_count: 0
    .wavefront_size: 64
  - .args:
      - .address_space:  global
        .offset:         0
        .size:           8
        .value_kind:     global_buffer
      - .offset:         8
        .size:           8
        .value_kind:     by_value
      - .address_space:  global
        .offset:         16
        .size:           8
        .value_kind:     global_buffer
      - .offset:         24
        .size:           8
        .value_kind:     by_value
      - .offset:         32
        .size:           1
        .value_kind:     by_value
    .group_segment_fixed_size: 32
    .kernarg_segment_align: 8
    .kernarg_segment_size: 36
    .language:       OpenCL C
    .language_version:
      - 2
      - 0
    .max_flat_workgroup_size: 128
    .name:           _ZN7rocprim6detail19block_reduce_kernelILb1ELb0ELj1ENS0_21wrapped_reduce_configINS_14default_configEdEEdPdS5_dNS_4plusIdEEEEvT4_mT5_T6_T7_
    .private_segment_fixed_size: 0
    .sgpr_count:     20
    .sgpr_spill_count: 0
    .symbol:         _ZN7rocprim6detail19block_reduce_kernelILb1ELb0ELj1ENS0_21wrapped_reduce_configINS_14default_configEdEEdPdS5_dNS_4plusIdEEEEvT4_mT5_T6_T7_.kd
    .uniform_work_group_size: 1
    .uses_dynamic_stack: false
    .vgpr_count:     20
    .vgpr_spill_count: 0
    .wavefront_size: 64
  - .args:
      - .address_space:  global
        .offset:         0
        .size:           8
        .value_kind:     global_buffer
      - .address_space:  global
        .offset:         8
        .size:           8
        .value_kind:     global_buffer
      - .offset:         16
        .size:           8
        .value_kind:     by_value
      - .offset:         24
        .size:           8
        .value_kind:     by_value
      - .offset:         32
        .size:           4
        .value_kind:     hidden_block_count_x
      - .offset:         36
        .size:           4
        .value_kind:     hidden_block_count_y
      - .offset:         40
        .size:           4
        .value_kind:     hidden_block_count_z
      - .offset:         44
        .size:           2
        .value_kind:     hidden_group_size_x
      - .offset:         46
        .size:           2
        .value_kind:     hidden_group_size_y
      - .offset:         48
        .size:           2
        .value_kind:     hidden_group_size_z
      - .offset:         50
        .size:           2
        .value_kind:     hidden_remainder_x
      - .offset:         52
        .size:           2
        .value_kind:     hidden_remainder_y
      - .offset:         54
        .size:           2
        .value_kind:     hidden_remainder_z
      - .offset:         72
        .size:           8
        .value_kind:     hidden_global_offset_x
      - .offset:         80
        .size:           8
        .value_kind:     hidden_global_offset_y
      - .offset:         88
        .size:           8
        .value_kind:     hidden_global_offset_z
      - .offset:         96
        .size:           2
        .value_kind:     hidden_grid_dims
      - .offset:         152
        .size:           4
        .value_kind:     hidden_dynamic_lds_size
    .group_segment_fixed_size: 0
    .kernarg_segment_align: 8
    .kernarg_segment_size: 288
    .language:       OpenCL C
    .language_version:
      - 2
      - 0
    .max_flat_workgroup_size: 256
    .name:           _ZN8rajaperf9algorithm10reduce_sumILm256EEEvPdS2_dl
    .private_segment_fixed_size: 0
    .sgpr_count:     20
    .sgpr_spill_count: 0
    .symbol:         _ZN8rajaperf9algorithm10reduce_sumILm256EEEvPdS2_dl.kd
    .uniform_work_group_size: 1
    .uses_dynamic_stack: false
    .vgpr_count:     12
    .vgpr_spill_count: 0
    .wavefront_size: 64
  - .args:
      - .offset:         0
        .size:           48
        .value_kind:     by_value
      - .offset:         48
        .size:           8
        .value_kind:     by_value
      - .offset:         56
        .size:           8
        .value_kind:     by_value
      - .offset:         64
        .size:           1
        .value_kind:     by_value
      - .offset:         72
        .size:           4
        .value_kind:     hidden_block_count_x
      - .offset:         76
        .size:           4
        .value_kind:     hidden_block_count_y
      - .offset:         80
        .size:           4
        .value_kind:     hidden_block_count_z
      - .offset:         84
        .size:           2
        .value_kind:     hidden_group_size_x
      - .offset:         86
        .size:           2
        .value_kind:     hidden_group_size_y
      - .offset:         88
        .size:           2
        .value_kind:     hidden_group_size_z
      - .offset:         90
        .size:           2
        .value_kind:     hidden_remainder_x
      - .offset:         92
        .size:           2
        .value_kind:     hidden_remainder_y
      - .offset:         94
        .size:           2
        .value_kind:     hidden_remainder_z
      - .offset:         112
        .size:           8
        .value_kind:     hidden_global_offset_x
      - .offset:         120
        .size:           8
        .value_kind:     hidden_global_offset_y
      - .offset:         128
        .size:           8
        .value_kind:     hidden_global_offset_z
      - .offset:         136
        .size:           2
        .value_kind:     hidden_grid_dims
    .group_segment_fixed_size: 128
    .kernarg_segment_align: 8
    .kernarg_segment_size: 328
    .language:       OpenCL C
    .language_version:
      - 2
      - 0
    .max_flat_workgroup_size: 256
    .name:           _ZN4RAJA6policy3hip4impl18forallp_hip_kernelINS1_8hip_execINS_17iteration_mapping6DirectENS_3hip11IndexGlobalILNS_9named_dimE0ELi256ELi0EEENS7_40AvoidDeviceMaxThreadOccupancyConcretizerINS7_34FractionOffsetOccupancyConcretizerINS_8FractionImLm1ELm1EEELln1EEEEELb1EEENS_9Iterators16numeric_iteratorIllPlEEZN8rajaperf9algorithm10REDUCE_SUM17runHipVariantRAJAILm256ENSM_13gpu_algorithm19block_atomic_helperENSM_11gpu_mapping20global_direct_helperEEEvNSM_9VariantIDEEUllE_lNS_4expt15ForallParamPackIJEEES6_SA_TnNSt9enable_ifIXaasr3std10is_base_ofINS5_10DirectBaseET4_EE5valuegtsrT5_10block_sizeLi0EEmE4typeELm256EEEvT1_T0_T2_T3_
    .private_segment_fixed_size: 0
    .sgpr_count:     24
    .sgpr_spill_count: 0
    .symbol:         _ZN4RAJA6policy3hip4impl18forallp_hip_kernelINS1_8hip_execINS_17iteration_mapping6DirectENS_3hip11IndexGlobalILNS_9named_dimE0ELi256ELi0EEENS7_40AvoidDeviceMaxThreadOccupancyConcretizerINS7_34FractionOffsetOccupancyConcretizerINS_8FractionImLm1ELm1EEELln1EEEEELb1EEENS_9Iterators16numeric_iteratorIllPlEEZN8rajaperf9algorithm10REDUCE_SUM17runHipVariantRAJAILm256ENSM_13gpu_algorithm19block_atomic_helperENSM_11gpu_mapping20global_direct_helperEEEvNSM_9VariantIDEEUllE_lNS_4expt15ForallParamPackIJEEES6_SA_TnNSt9enable_ifIXaasr3std10is_base_ofINS5_10DirectBaseET4_EE5valuegtsrT5_10block_sizeLi0EEmE4typeELm256EEEvT1_T0_T2_T3_.kd
    .uniform_work_group_size: 1
    .uses_dynamic_stack: false
    .vgpr_count:     15
    .vgpr_spill_count: 0
    .wavefront_size: 64
  - .args:
      - .offset:         0
        .size:           64
        .value_kind:     by_value
      - .offset:         64
        .size:           8
        .value_kind:     by_value
      - .offset:         72
        .size:           8
        .value_kind:     by_value
      - .offset:         80
        .size:           1
        .value_kind:     by_value
      - .offset:         88
        .size:           4
        .value_kind:     hidden_block_count_x
      - .offset:         92
        .size:           4
        .value_kind:     hidden_block_count_y
      - .offset:         96
        .size:           4
        .value_kind:     hidden_block_count_z
      - .offset:         100
        .size:           2
        .value_kind:     hidden_group_size_x
      - .offset:         102
        .size:           2
        .value_kind:     hidden_group_size_y
      - .offset:         104
        .size:           2
        .value_kind:     hidden_group_size_z
      - .offset:         106
        .size:           2
        .value_kind:     hidden_remainder_x
      - .offset:         108
        .size:           2
        .value_kind:     hidden_remainder_y
      - .offset:         110
        .size:           2
        .value_kind:     hidden_remainder_z
      - .offset:         128
        .size:           8
        .value_kind:     hidden_global_offset_x
      - .offset:         136
        .size:           8
        .value_kind:     hidden_global_offset_y
      - .offset:         144
        .size:           8
        .value_kind:     hidden_global_offset_z
      - .offset:         152
        .size:           2
        .value_kind:     hidden_grid_dims
    .group_segment_fixed_size: 129
    .kernarg_segment_align: 8
    .kernarg_segment_size: 344
    .language:       OpenCL C
    .language_version:
      - 2
      - 0
    .max_flat_workgroup_size: 256
    .name:           _ZN4RAJA6policy3hip4impl18forallp_hip_kernelINS1_8hip_execINS_17iteration_mapping6DirectENS_3hip11IndexGlobalILNS_9named_dimE0ELi256ELi0EEENS7_40AvoidDeviceMaxThreadOccupancyConcretizerINS7_34FractionOffsetOccupancyConcretizerINS_8FractionImLm1ELm1EEELln1EEEEELb1EEENS_9Iterators16numeric_iteratorIllPlEEZN8rajaperf9algorithm10REDUCE_SUM17runHipVariantRAJAILm256ENSM_13gpu_algorithm19block_device_helperENSM_11gpu_mapping20global_direct_helperEEEvNSM_9VariantIDEEUllE_lNS_4expt15ForallParamPackIJEEES6_SA_TnNSt9enable_ifIXaasr3std10is_base_ofINS5_10DirectBaseET4_EE5valuegtsrT5_10block_sizeLi0EEmE4typeELm256EEEvT1_T0_T2_T3_
    .private_segment_fixed_size: 0
    .sgpr_count:     30
    .sgpr_spill_count: 0
    .symbol:         _ZN4RAJA6policy3hip4impl18forallp_hip_kernelINS1_8hip_execINS_17iteration_mapping6DirectENS_3hip11IndexGlobalILNS_9named_dimE0ELi256ELi0EEENS7_40AvoidDeviceMaxThreadOccupancyConcretizerINS7_34FractionOffsetOccupancyConcretizerINS_8FractionImLm1ELm1EEELln1EEEEELb1EEENS_9Iterators16numeric_iteratorIllPlEEZN8rajaperf9algorithm10REDUCE_SUM17runHipVariantRAJAILm256ENSM_13gpu_algorithm19block_device_helperENSM_11gpu_mapping20global_direct_helperEEEvNSM_9VariantIDEEUllE_lNS_4expt15ForallParamPackIJEEES6_SA_TnNSt9enable_ifIXaasr3std10is_base_ofINS5_10DirectBaseET4_EE5valuegtsrT5_10block_sizeLi0EEmE4typeELm256EEEvT1_T0_T2_T3_.kd
    .uniform_work_group_size: 1
    .uses_dynamic_stack: false
    .vgpr_count:     20
    .vgpr_spill_count: 0
    .wavefront_size: 64
  - .args:
      - .address_space:  global
        .offset:         0
        .size:           8
        .value_kind:     global_buffer
      - .offset:         8
        .size:           8
        .value_kind:     by_value
      - .offset:         16
        .size:           8
        .value_kind:     by_value
      - .offset:         24
        .size:           40
        .value_kind:     by_value
      - .offset:         64
        .size:           4
        .value_kind:     hidden_block_count_x
      - .offset:         68
        .size:           4
        .value_kind:     hidden_block_count_y
      - .offset:         72
        .size:           4
        .value_kind:     hidden_block_count_z
      - .offset:         76
        .size:           2
        .value_kind:     hidden_group_size_x
      - .offset:         78
        .size:           2
        .value_kind:     hidden_group_size_y
      - .offset:         80
        .size:           2
        .value_kind:     hidden_group_size_z
      - .offset:         82
        .size:           2
        .value_kind:     hidden_remainder_x
      - .offset:         84
        .size:           2
        .value_kind:     hidden_remainder_y
      - .offset:         86
        .size:           2
        .value_kind:     hidden_remainder_z
      - .offset:         104
        .size:           8
        .value_kind:     hidden_global_offset_x
      - .offset:         112
        .size:           8
        .value_kind:     hidden_global_offset_y
      - .offset:         120
        .size:           8
        .value_kind:     hidden_global_offset_z
      - .offset:         128
        .size:           2
        .value_kind:     hidden_grid_dims
    .group_segment_fixed_size: 384
    .kernarg_segment_align: 8
    .kernarg_segment_size: 320
    .language:       OpenCL C
    .language_version:
      - 2
      - 0
    .max_flat_workgroup_size: 256
    .name:           _ZN4RAJA6policy3hip4impl18forallp_hip_kernelINS1_8hip_execINS_17iteration_mapping6DirectENS_3hip11IndexGlobalILNS_9named_dimE0ELi256ELi0EEENS7_40AvoidDeviceMaxThreadOccupancyConcretizerINS7_34FractionOffsetOccupancyConcretizerINS_8FractionImLm1ELm1EEELln1EEEEELb1EEENS_9Iterators16numeric_iteratorIllPlEEZN8rajaperf9algorithm10REDUCE_SUM26runHipVariantRAJANewReduceILm256ENSM_11gpu_mapping20global_direct_helperEEEvNSM_9VariantIDEEUllRNS_4expt5ValOpIdNS_9operators4plusEEEE_lNST_15ForallParamPackIJNST_6detail7ReducerINSW_IdddEEdSX_EEEEES6_SA_TnNSt9enable_ifIXaasr3std10is_base_ofINS5_10DirectBaseET4_EE5valuegtsrT5_10block_sizeLi0EEmE4typeELm256EEEvT1_T0_T2_T3_
    .private_segment_fixed_size: 0
    .sgpr_count:     26
    .sgpr_spill_count: 0
    .symbol:         _ZN4RAJA6policy3hip4impl18forallp_hip_kernelINS1_8hip_execINS_17iteration_mapping6DirectENS_3hip11IndexGlobalILNS_9named_dimE0ELi256ELi0EEENS7_40AvoidDeviceMaxThreadOccupancyConcretizerINS7_34FractionOffsetOccupancyConcretizerINS_8FractionImLm1ELm1EEELln1EEEEELb1EEENS_9Iterators16numeric_iteratorIllPlEEZN8rajaperf9algorithm10REDUCE_SUM26runHipVariantRAJANewReduceILm256ENSM_11gpu_mapping20global_direct_helperEEEvNSM_9VariantIDEEUllRNS_4expt5ValOpIdNS_9operators4plusEEEE_lNST_15ForallParamPackIJNST_6detail7ReducerINSW_IdddEEdSX_EEEEES6_SA_TnNSt9enable_ifIXaasr3std10is_base_ofINS5_10DirectBaseET4_EE5valuegtsrT5_10block_sizeLi0EEmE4typeELm256EEEvT1_T0_T2_T3_.kd
    .uniform_work_group_size: 1
    .uses_dynamic_stack: false
    .vgpr_count:     15
    .vgpr_spill_count: 0
    .wavefront_size: 64
  - .args:
      - .offset:         0
        .size:           48
        .value_kind:     by_value
      - .offset:         48
        .size:           8
        .value_kind:     by_value
      - .offset:         56
        .size:           8
        .value_kind:     by_value
      - .offset:         64
        .size:           1
        .value_kind:     by_value
      - .offset:         72
        .size:           4
        .value_kind:     hidden_block_count_x
      - .offset:         76
        .size:           4
        .value_kind:     hidden_block_count_y
      - .offset:         80
        .size:           4
        .value_kind:     hidden_block_count_z
      - .offset:         84
        .size:           2
        .value_kind:     hidden_group_size_x
      - .offset:         86
        .size:           2
        .value_kind:     hidden_group_size_y
      - .offset:         88
        .size:           2
        .value_kind:     hidden_group_size_z
      - .offset:         90
        .size:           2
        .value_kind:     hidden_remainder_x
      - .offset:         92
        .size:           2
        .value_kind:     hidden_remainder_y
      - .offset:         94
        .size:           2
        .value_kind:     hidden_remainder_z
      - .offset:         112
        .size:           8
        .value_kind:     hidden_global_offset_x
      - .offset:         120
        .size:           8
        .value_kind:     hidden_global_offset_y
      - .offset:         128
        .size:           8
        .value_kind:     hidden_global_offset_z
      - .offset:         136
        .size:           2
        .value_kind:     hidden_grid_dims
    .group_segment_fixed_size: 128
    .kernarg_segment_align: 8
    .kernarg_segment_size: 328
    .language:       OpenCL C
    .language_version:
      - 2
      - 0
    .max_flat_workgroup_size: 256
    .name:           _ZN4RAJA6policy3hip4impl18forallp_hip_kernelINS1_8hip_execINS_17iteration_mapping11StridedLoopILm0EEENS_3hip11IndexGlobalILNS_9named_dimE0ELi256ELi0EEENS8_40AvoidDeviceMaxThreadOccupancyConcretizerINS8_34FractionOffsetOccupancyConcretizerINS_8FractionImLm1ELm1EEELln1EEEEELb1EEENS_9Iterators16numeric_iteratorIllPlEEZN8rajaperf9algorithm10REDUCE_SUM17runHipVariantRAJAILm256ENSN_13gpu_algorithm19block_atomic_helperENSN_11gpu_mapping40global_loop_occupancy_grid_stride_helperEEEvNSN_9VariantIDEEUllE_lNS_4expt15ForallParamPackIJEEES7_SB_TnNSt9enable_ifIXaaaasr3std10is_base_ofINS5_15StridedLoopBaseET4_EE5valuesr3std10is_base_ofINS5_15UnsizedLoopBaseES12_EE5valuegtsrT5_10block_sizeLi0EEmE4typeELm256EEEvT1_T0_T2_T3_
    .private_segment_fixed_size: 0
    .sgpr_count:     28
    .sgpr_spill_count: 0
    .symbol:         _ZN4RAJA6policy3hip4impl18forallp_hip_kernelINS1_8hip_execINS_17iteration_mapping11StridedLoopILm0EEENS_3hip11IndexGlobalILNS_9named_dimE0ELi256ELi0EEENS8_40AvoidDeviceMaxThreadOccupancyConcretizerINS8_34FractionOffsetOccupancyConcretizerINS_8FractionImLm1ELm1EEELln1EEEEELb1EEENS_9Iterators16numeric_iteratorIllPlEEZN8rajaperf9algorithm10REDUCE_SUM17runHipVariantRAJAILm256ENSN_13gpu_algorithm19block_atomic_helperENSN_11gpu_mapping40global_loop_occupancy_grid_stride_helperEEEvNSN_9VariantIDEEUllE_lNS_4expt15ForallParamPackIJEEES7_SB_TnNSt9enable_ifIXaaaasr3std10is_base_ofINS5_15StridedLoopBaseET4_EE5valuesr3std10is_base_ofINS5_15UnsizedLoopBaseES12_EE5valuegtsrT5_10block_sizeLi0EEmE4typeELm256EEEvT1_T0_T2_T3_.kd
    .uniform_work_group_size: 1
    .uses_dynamic_stack: false
    .vgpr_count:     15
    .vgpr_spill_count: 0
    .wavefront_size: 64
  - .args:
      - .offset:         0
        .size:           64
        .value_kind:     by_value
      - .offset:         64
        .size:           8
        .value_kind:     by_value
      - .offset:         72
        .size:           8
        .value_kind:     by_value
      - .offset:         80
        .size:           1
        .value_kind:     by_value
      - .offset:         88
        .size:           4
        .value_kind:     hidden_block_count_x
      - .offset:         92
        .size:           4
        .value_kind:     hidden_block_count_y
      - .offset:         96
        .size:           4
        .value_kind:     hidden_block_count_z
      - .offset:         100
        .size:           2
        .value_kind:     hidden_group_size_x
      - .offset:         102
        .size:           2
        .value_kind:     hidden_group_size_y
      - .offset:         104
        .size:           2
        .value_kind:     hidden_group_size_z
      - .offset:         106
        .size:           2
        .value_kind:     hidden_remainder_x
      - .offset:         108
        .size:           2
        .value_kind:     hidden_remainder_y
      - .offset:         110
        .size:           2
        .value_kind:     hidden_remainder_z
      - .offset:         128
        .size:           8
        .value_kind:     hidden_global_offset_x
      - .offset:         136
        .size:           8
        .value_kind:     hidden_global_offset_y
      - .offset:         144
        .size:           8
        .value_kind:     hidden_global_offset_z
      - .offset:         152
        .size:           2
        .value_kind:     hidden_grid_dims
    .group_segment_fixed_size: 129
    .kernarg_segment_align: 8
    .kernarg_segment_size: 344
    .language:       OpenCL C
    .language_version:
      - 2
      - 0
    .max_flat_workgroup_size: 256
    .name:           _ZN4RAJA6policy3hip4impl18forallp_hip_kernelINS1_8hip_execINS_17iteration_mapping11StridedLoopILm0EEENS_3hip11IndexGlobalILNS_9named_dimE0ELi256ELi0EEENS8_40AvoidDeviceMaxThreadOccupancyConcretizerINS8_34FractionOffsetOccupancyConcretizerINS_8FractionImLm1ELm1EEELln1EEEEELb1EEENS_9Iterators16numeric_iteratorIllPlEEZN8rajaperf9algorithm10REDUCE_SUM17runHipVariantRAJAILm256ENSN_13gpu_algorithm19block_device_helperENSN_11gpu_mapping40global_loop_occupancy_grid_stride_helperEEEvNSN_9VariantIDEEUllE_lNS_4expt15ForallParamPackIJEEES7_SB_TnNSt9enable_ifIXaaaasr3std10is_base_ofINS5_15StridedLoopBaseET4_EE5valuesr3std10is_base_ofINS5_15UnsizedLoopBaseES12_EE5valuegtsrT5_10block_sizeLi0EEmE4typeELm256EEEvT1_T0_T2_T3_
    .private_segment_fixed_size: 0
    .sgpr_count:     32
    .sgpr_spill_count: 0
    .symbol:         _ZN4RAJA6policy3hip4impl18forallp_hip_kernelINS1_8hip_execINS_17iteration_mapping11StridedLoopILm0EEENS_3hip11IndexGlobalILNS_9named_dimE0ELi256ELi0EEENS8_40AvoidDeviceMaxThreadOccupancyConcretizerINS8_34FractionOffsetOccupancyConcretizerINS_8FractionImLm1ELm1EEELln1EEEEELb1EEENS_9Iterators16numeric_iteratorIllPlEEZN8rajaperf9algorithm10REDUCE_SUM17runHipVariantRAJAILm256ENSN_13gpu_algorithm19block_device_helperENSN_11gpu_mapping40global_loop_occupancy_grid_stride_helperEEEvNSN_9VariantIDEEUllE_lNS_4expt15ForallParamPackIJEEES7_SB_TnNSt9enable_ifIXaaaasr3std10is_base_ofINS5_15StridedLoopBaseET4_EE5valuesr3std10is_base_ofINS5_15UnsizedLoopBaseES12_EE5valuegtsrT5_10block_sizeLi0EEmE4typeELm256EEEvT1_T0_T2_T3_.kd
    .uniform_work_group_size: 1
    .uses_dynamic_stack: false
    .vgpr_count:     20
    .vgpr_spill_count: 0
    .wavefront_size: 64
  - .args:
      - .address_space:  global
        .offset:         0
        .size:           8
        .value_kind:     global_buffer
      - .offset:         8
        .size:           8
        .value_kind:     by_value
      - .offset:         16
        .size:           8
        .value_kind:     by_value
      - .offset:         24
        .size:           40
        .value_kind:     by_value
      - .offset:         64
        .size:           4
        .value_kind:     hidden_block_count_x
      - .offset:         68
        .size:           4
        .value_kind:     hidden_block_count_y
      - .offset:         72
        .size:           4
        .value_kind:     hidden_block_count_z
      - .offset:         76
        .size:           2
        .value_kind:     hidden_group_size_x
      - .offset:         78
        .size:           2
        .value_kind:     hidden_group_size_y
      - .offset:         80
        .size:           2
        .value_kind:     hidden_group_size_z
      - .offset:         82
        .size:           2
        .value_kind:     hidden_remainder_x
      - .offset:         84
        .size:           2
        .value_kind:     hidden_remainder_y
      - .offset:         86
        .size:           2
        .value_kind:     hidden_remainder_z
      - .offset:         104
        .size:           8
        .value_kind:     hidden_global_offset_x
      - .offset:         112
        .size:           8
        .value_kind:     hidden_global_offset_y
      - .offset:         120
        .size:           8
        .value_kind:     hidden_global_offset_z
      - .offset:         128
        .size:           2
        .value_kind:     hidden_grid_dims
    .group_segment_fixed_size: 384
    .kernarg_segment_align: 8
    .kernarg_segment_size: 320
    .language:       OpenCL C
    .language_version:
      - 2
      - 0
    .max_flat_workgroup_size: 256
    .name:           _ZN4RAJA6policy3hip4impl18forallp_hip_kernelINS1_8hip_execINS_17iteration_mapping11StridedLoopILm0EEENS_3hip11IndexGlobalILNS_9named_dimE0ELi256ELi0EEENS8_40AvoidDeviceMaxThreadOccupancyConcretizerINS8_34FractionOffsetOccupancyConcretizerINS_8FractionImLm1ELm1EEELln1EEEEELb1EEENS_9Iterators16numeric_iteratorIllPlEEZN8rajaperf9algorithm10REDUCE_SUM26runHipVariantRAJANewReduceILm256ENSN_11gpu_mapping40global_loop_occupancy_grid_stride_helperEEEvNSN_9VariantIDEEUllRNS_4expt5ValOpIdNS_9operators4plusEEEE_lNSU_15ForallParamPackIJNSU_6detail7ReducerINSX_IdddEEdSY_EEEEES7_SB_TnNSt9enable_ifIXaaaasr3std10is_base_ofINS5_15StridedLoopBaseET4_EE5valuesr3std10is_base_ofINS5_15UnsizedLoopBaseES19_EE5valuegtsrT5_10block_sizeLi0EEmE4typeELm256EEEvT1_T0_T2_T3_
    .private_segment_fixed_size: 0
    .sgpr_count:     30
    .sgpr_spill_count: 0
    .symbol:         _ZN4RAJA6policy3hip4impl18forallp_hip_kernelINS1_8hip_execINS_17iteration_mapping11StridedLoopILm0EEENS_3hip11IndexGlobalILNS_9named_dimE0ELi256ELi0EEENS8_40AvoidDeviceMaxThreadOccupancyConcretizerINS8_34FractionOffsetOccupancyConcretizerINS_8FractionImLm1ELm1EEELln1EEEEELb1EEENS_9Iterators16numeric_iteratorIllPlEEZN8rajaperf9algorithm10REDUCE_SUM26runHipVariantRAJANewReduceILm256ENSN_11gpu_mapping40global_loop_occupancy_grid_stride_helperEEEvNSN_9VariantIDEEUllRNS_4expt5ValOpIdNS_9operators4plusEEEE_lNSU_15ForallParamPackIJNSU_6detail7ReducerINSX_IdddEEdSY_EEEEES7_SB_TnNSt9enable_ifIXaaaasr3std10is_base_ofINS5_15StridedLoopBaseET4_EE5valuesr3std10is_base_ofINS5_15UnsizedLoopBaseES19_EE5valuegtsrT5_10block_sizeLi0EEmE4typeELm256EEEvT1_T0_T2_T3_.kd
    .uniform_work_group_size: 1
    .uses_dynamic_stack: false
    .vgpr_count:     15
    .vgpr_spill_count: 0
    .wavefront_size: 64
amdhsa.target:   amdgcn-amd-amdhsa--gfx906
amdhsa.version:
  - 1
  - 2
...

	.end_amdgpu_metadata
